;; amdgpu-corpus repo=zjin-lcf/HeCBench kind=compiled arch=gfx1100 opt=O3
	.text
	.amdgcn_target "amdgcn-amd-amdhsa--gfx1100"
	.amdhsa_code_object_version 6
	.protected	_Z16computeMinMaxLv1Pf  ; -- Begin function _Z16computeMinMaxLv1Pf
	.globl	_Z16computeMinMaxLv1Pf
	.p2align	8
	.type	_Z16computeMinMaxLv1Pf,@function
_Z16computeMinMaxLv1Pf:                 ; @_Z16computeMinMaxLv1Pf
; %bb.0:
	v_and_b32_e32 v1, 0x3ff, v0
	s_mul_i32 s2, s13, 15
	s_mul_i32 s4, s15, 63
	s_delay_alu instid0(VALU_DEP_1) | instskip(SKIP_1) | instid1(SALU_CYCLE_1)
	v_add3_u32 v2, v1, s2, 0xfffffe00
	s_add_i32 s2, s4, 0xfffffe00
	v_cvt_f32_i32_e32 v3, s2
	s_load_b64 s[2:3], s[0:1], 0x0
	s_delay_alu instid0(VALU_DEP_2) | instskip(SKIP_1) | instid1(VALU_DEP_1)
	v_cvt_f32_i32_e32 v2, v2
	s_mov_b32 s0, 0
	v_dual_mul_f32 v5, 0x3b000000, v3 :: v_dual_mul_f32 v4, 0x3b000000, v2
	s_delay_alu instid0(VALU_DEP_1) | instskip(NEXT) | instid1(VALU_DEP_1)
	v_mul_f32_e32 v2, 0x41800000, v4
	v_dual_mul_f32 v3, v4, v4 :: v_dual_mul_f32 v4, v5, v2
	s_delay_alu instid0(VALU_DEP_1) | instskip(NEXT) | instid1(VALU_DEP_2)
	v_fma_f32 v6, v5, v5, v3
	v_fma_f32 v4, -v5, v4, 1.0
	s_delay_alu instid0(VALU_DEP_2) | instskip(NEXT) | instid1(VALU_DEP_1)
	v_fmac_f32_e32 v6, v5, v5
	v_fmac_f32_e32 v4, -4.0, v6
	s_delay_alu instid0(VALU_DEP_1)
	v_mov_b32_e32 v5, v4
.LBB0_1:                                ; =>This Inner Loop Header: Depth=1
	s_add_i32 s1, s4, s0
	s_add_i32 s0, s0, 9
	;; [unrolled: 1-line block ×6, first 2 shown]
	v_cvt_f32_i32_e32 v6, s5
	v_cvt_f32_i32_e32 v7, s6
	;; [unrolled: 1-line block ×4, first 2 shown]
	s_add_i32 s9, s1, 0xfffffe05
	s_add_i32 s10, s1, 0xfffffe06
	;; [unrolled: 1-line block ×4, first 2 shown]
	s_addk_i32 s1, 0xfe09
	v_cvt_f32_i32_e32 v10, s9
	v_cvt_f32_i32_e32 v14, s1
	v_dual_mul_f32 v6, 0x3b000000, v6 :: v_dual_mul_f32 v7, 0x3b000000, v7
	v_dual_mul_f32 v8, 0x3b000000, v8 :: v_dual_mul_f32 v9, 0x3b000000, v9
	v_cvt_f32_i32_e32 v11, s10
	v_mul_f32_e32 v10, 0x3b000000, v10
	s_delay_alu instid0(VALU_DEP_4)
	v_dual_mul_f32 v14, 0x3b000000, v14 :: v_dual_mul_f32 v17, v2, v7
	v_fma_f32 v16, v6, v6, v3
	v_fma_f32 v18, v7, v7, v3
	v_mul_f32_e32 v15, v2, v6
	v_fma_f32 v20, v8, v8, v3
	v_fma_f32 v22, v9, v9, v3
	v_mul_f32_e32 v19, v2, v8
	v_cvt_f32_i32_e32 v12, s11
	v_cvt_f32_i32_e32 v13, s12
	s_delay_alu instid0(VALU_DEP_4)
	v_dual_mul_f32 v11, 0x3b000000, v11 :: v_dual_fmac_f32 v22, v9, v9
	v_dual_mul_f32 v21, v2, v9 :: v_dual_fmac_f32 v20, v8, v8
	v_fma_f32 v24, v10, v10, v3
	v_fmac_f32_e32 v16, v6, v6
	v_fmac_f32_e32 v18, v7, v7
	v_fma_f32 v15, -v6, v15, 1.0
	v_fma_f32 v6, -v7, v17, 1.0
	;; [unrolled: 1-line block ×3, first 2 shown]
	v_dual_mul_f32 v12, 0x3b000000, v12 :: v_dual_mul_f32 v13, 0x3b000000, v13
	v_fma_f32 v26, v11, v11, v3
	v_mul_f32_e32 v23, v2, v10
	s_delay_alu instid0(VALU_DEP_4)
	v_dual_fmac_f32 v7, -4.0, v20 :: v_dual_fmac_f32 v24, v10, v10
	v_fmac_f32_e32 v15, -4.0, v16
	v_fma_f32 v28, v12, v12, v3
	v_mul_f32_e32 v25, v2, v11
	v_dual_mul_f32 v29, v2, v13 :: v_dual_fmac_f32 v6, -4.0, v18
	v_fma_f32 v30, v13, v13, v3
	v_mul_f32_e32 v27, v2, v12
	v_cmp_lt_f32_e32 vcc_lo, v15, v4
	v_mul_f32_e32 v31, v2, v14
	v_fma_f32 v8, -v9, v21, 1.0
	v_fmac_f32_e32 v26, v11, v11
	v_fma_f32 v9, -v10, v23, 1.0
	v_cndmask_b32_e32 v4, v4, v15, vcc_lo
	v_fmac_f32_e32 v28, v12, v12
	v_fma_f32 v10, -v11, v25, 1.0
	v_fmac_f32_e32 v30, v13, v13
	v_fma_f32 v11, -v12, v27, 1.0
	v_fma_f32 v12, -v13, v29, 1.0
	v_cmp_gt_f32_e32 vcc_lo, v15, v5
	v_fmac_f32_e32 v8, -4.0, v22
	v_fma_f32 v32, v14, v14, v3
	s_delay_alu instid0(VALU_DEP_4) | instskip(SKIP_2) | instid1(VALU_DEP_4)
	v_dual_fmac_f32 v11, -4.0, v28 :: v_dual_fmac_f32 v12, -4.0, v30
	v_cndmask_b32_e32 v5, v5, v15, vcc_lo
	v_cmp_lt_f32_e32 vcc_lo, v6, v4
	v_dual_fmac_f32 v32, v14, v14 :: v_dual_fmac_f32 v9, -4.0, v24
	v_fma_f32 v13, -v14, v31, 1.0
	v_fmac_f32_e32 v10, -4.0, v26
	v_cndmask_b32_e32 v4, v4, v6, vcc_lo
	v_cmp_gt_f32_e32 vcc_lo, v6, v5
	s_cmp_eq_u32 s0, 63
	v_fmac_f32_e32 v13, -4.0, v32
	v_cndmask_b32_e32 v5, v5, v6, vcc_lo
	v_cmp_lt_f32_e32 vcc_lo, v7, v4
	v_cndmask_b32_e32 v4, v4, v7, vcc_lo
	s_delay_alu instid0(VALU_DEP_3) | instskip(SKIP_1) | instid1(VALU_DEP_3)
	v_cmp_gt_f32_e32 vcc_lo, v7, v5
	v_cndmask_b32_e32 v5, v5, v7, vcc_lo
	v_cmp_lt_f32_e32 vcc_lo, v8, v4
	v_cndmask_b32_e32 v4, v4, v8, vcc_lo
	s_delay_alu instid0(VALU_DEP_3) | instskip(SKIP_1) | instid1(VALU_DEP_3)
	v_cmp_gt_f32_e32 vcc_lo, v8, v5
	;; [unrolled: 5-line block ×6, first 2 shown]
	v_cndmask_b32_e32 v5, v5, v12, vcc_lo
	v_cmp_lt_f32_e32 vcc_lo, v13, v4
	v_cndmask_b32_e32 v4, v4, v13, vcc_lo
	s_delay_alu instid0(VALU_DEP_3)
	v_cmp_gt_f32_e32 vcc_lo, v13, v5
	v_cndmask_b32_e32 v5, v5, v13, vcc_lo
	s_cbranch_scc0 .LBB0_1
; %bb.2:
	v_mbcnt_lo_u32_b32 v6, -1, 0
	v_bfe_u32 v0, v0, 10, 10
	s_delay_alu instid0(VALU_DEP_2) | instskip(NEXT) | instid1(VALU_DEP_2)
	v_cmp_gt_u32_e32 vcc_lo, 16, v6
	v_lshl_add_u32 v1, v0, 4, v1
	v_cndmask_b32_e64 v2, 0, 1, vcc_lo
	v_cmp_gt_u32_e32 vcc_lo, 24, v6
	s_delay_alu instid0(VALU_DEP_3) | instskip(NEXT) | instid1(VALU_DEP_3)
	v_and_b32_e32 v0, 31, v1
	v_lshlrev_b32_e32 v2, 4, v2
	v_cndmask_b32_e64 v7, 0, 1, vcc_lo
	s_delay_alu instid0(VALU_DEP_2)
	v_add_lshl_u32 v2, v2, v6, 2
	ds_bpermute_b32 v3, v2, v4
	ds_bpermute_b32 v2, v2, v5
	s_waitcnt lgkmcnt(0)
	v_cmp_gt_f32_e32 vcc_lo, v4, v3
	v_cndmask_b32_e32 v3, v4, v3, vcc_lo
	v_cmp_lt_f32_e32 vcc_lo, v5, v2
	v_dual_cndmask_b32 v4, v5, v2 :: v_dual_lshlrev_b32 v7, 3, v7
	s_delay_alu instid0(VALU_DEP_1)
	v_add_lshl_u32 v7, v7, v6, 2
	v_cmp_gt_u32_e32 vcc_lo, 28, v6
	ds_bpermute_b32 v5, v7, v3
	ds_bpermute_b32 v7, v7, v4
	v_cndmask_b32_e64 v2, 0, 1, vcc_lo
	s_waitcnt lgkmcnt(1)
	v_cmp_gt_f32_e32 vcc_lo, v3, v5
	s_delay_alu instid0(VALU_DEP_2) | instskip(NEXT) | instid1(VALU_DEP_1)
	v_dual_cndmask_b32 v5, v3, v5 :: v_dual_lshlrev_b32 v2, 2, v2
	v_add_lshl_u32 v2, v2, v6, 2
	s_waitcnt lgkmcnt(0)
	v_cmp_lt_f32_e32 vcc_lo, v4, v7
	v_cndmask_b32_e32 v4, v4, v7, vcc_lo
	ds_bpermute_b32 v7, v2, v5
	v_cmp_gt_u32_e32 vcc_lo, 30, v6
	ds_bpermute_b32 v8, v2, v4
	v_cndmask_b32_e64 v3, 0, 1, vcc_lo
	s_waitcnt lgkmcnt(1)
	v_cmp_gt_f32_e32 vcc_lo, v5, v7
	v_cndmask_b32_e32 v5, v5, v7, vcc_lo
	s_waitcnt lgkmcnt(0)
	v_cmp_lt_f32_e32 vcc_lo, v4, v8
	v_cndmask_b32_e32 v7, v4, v8, vcc_lo
	v_lshlrev_b32_e32 v3, 1, v3
	v_cmp_ne_u32_e32 vcc_lo, 31, v6
	s_delay_alu instid0(VALU_DEP_2)
	v_add_lshl_u32 v3, v3, v6, 2
	v_add_co_ci_u32_e32 v4, vcc_lo, 0, v6, vcc_lo
	ds_bpermute_b32 v9, v3, v7
	v_lshlrev_b32_e32 v4, 2, v4
	ds_bpermute_b32 v8, v3, v5
	s_waitcnt lgkmcnt(0)
	v_cmp_gt_f32_e32 vcc_lo, v5, v8
	v_cndmask_b32_e32 v5, v5, v8, vcc_lo
	v_cmp_lt_f32_e32 vcc_lo, v7, v9
	v_cndmask_b32_e32 v6, v7, v9, vcc_lo
	ds_bpermute_b32 v7, v4, v5
	v_cmp_eq_u32_e32 vcc_lo, 0, v0
	ds_bpermute_b32 v8, v4, v6
	s_and_saveexec_b32 s1, vcc_lo
	s_cbranch_execz .LBB0_4
; %bb.3:
	s_waitcnt lgkmcnt(0)
	v_cmp_lt_f32_e64 s0, v6, v8
	s_delay_alu instid0(VALU_DEP_1) | instskip(SKIP_1) | instid1(VALU_DEP_1)
	v_cndmask_b32_e64 v6, v6, v8, s0
	v_cmp_gt_f32_e64 s0, v5, v7
	v_cndmask_b32_e64 v5, v5, v7, s0
	v_lshrrev_b32_e32 v7, 3, v1
	ds_store_2addr_b32 v7, v5, v6 offset1:8
.LBB0_4:
	s_or_b32 exec_lo, exec_lo, s1
	s_waitcnt lgkmcnt(0)
	s_barrier
	buffer_gl0_inv
	s_mov_b32 s1, exec_lo
	v_cmpx_gt_u32_e32 32, v1
	s_cbranch_execz .LBB0_7
; %bb.5:
	v_lshlrev_b32_e32 v0, 2, v0
	ds_load_2addr_b32 v[0:1], v0 offset1:8
	s_waitcnt lgkmcnt(0)
	ds_bpermute_b32 v5, v2, v0
	ds_bpermute_b32 v2, v2, v1
	s_waitcnt lgkmcnt(1)
	v_cmp_gt_f32_e64 s0, v0, v5
	s_delay_alu instid0(VALU_DEP_1) | instskip(SKIP_2) | instid1(VALU_DEP_1)
	v_cndmask_b32_e64 v0, v0, v5, s0
	s_waitcnt lgkmcnt(0)
	v_cmp_lt_f32_e64 s0, v1, v2
	v_cndmask_b32_e64 v1, v1, v2, s0
	ds_bpermute_b32 v2, v3, v0
	ds_bpermute_b32 v3, v3, v1
	s_waitcnt lgkmcnt(1)
	v_cmp_gt_f32_e64 s0, v0, v2
	s_delay_alu instid0(VALU_DEP_1) | instskip(SKIP_2) | instid1(VALU_DEP_1)
	v_cndmask_b32_e64 v0, v0, v2, s0
	s_waitcnt lgkmcnt(0)
	v_cmp_lt_f32_e64 s0, v1, v3
	v_cndmask_b32_e64 v2, v1, v3, s0
	ds_bpermute_b32 v1, v4, v0
	ds_bpermute_b32 v3, v4, v2
	s_and_b32 exec_lo, exec_lo, vcc_lo
	s_cbranch_execz .LBB0_7
; %bb.6:
	s_mul_i32 s0, s15, 0x44
	s_waitcnt lgkmcnt(0)
	v_cmp_lt_f32_e32 vcc_lo, v2, v3
	s_add_i32 s0, s0, s14
	s_mov_b32 s1, 0
	s_mulk_i32 s0, 0x44
	v_cndmask_b32_e32 v2, v2, v3, vcc_lo
	v_cmp_gt_f32_e32 vcc_lo, v0, v1
	s_add_i32 s0, s0, s13
	s_delay_alu instid0(SALU_CYCLE_1)
	s_lshl_b32 s0, s0, 1
	v_cndmask_b32_e32 v1, v0, v1, vcc_lo
	s_lshl_b64 s[0:1], s[0:1], 2
	v_mov_b32_e32 v0, 0
	s_add_u32 s0, s2, s0
	s_addc_u32 s1, s3, s1
	global_store_b64 v0, v[1:2], s[0:1]
.LBB0_7:
	s_nop 0
	s_sendmsg sendmsg(MSG_DEALLOC_VGPRS)
	s_endpgm
	.section	.rodata,"a",@progbits
	.p2align	6, 0x0
	.amdhsa_kernel _Z16computeMinMaxLv1Pf
		.amdhsa_group_segment_fixed_size 256
		.amdhsa_private_segment_fixed_size 0
		.amdhsa_kernarg_size 8
		.amdhsa_user_sgpr_count 13
		.amdhsa_user_sgpr_dispatch_ptr 0
		.amdhsa_user_sgpr_queue_ptr 0
		.amdhsa_user_sgpr_kernarg_segment_ptr 1
		.amdhsa_user_sgpr_dispatch_id 0
		.amdhsa_user_sgpr_private_segment_size 0
		.amdhsa_wavefront_size32 1
		.amdhsa_uses_dynamic_stack 0
		.amdhsa_enable_private_segment 0
		.amdhsa_system_sgpr_workgroup_id_x 1
		.amdhsa_system_sgpr_workgroup_id_y 1
		.amdhsa_system_sgpr_workgroup_id_z 1
		.amdhsa_system_sgpr_workgroup_info 0
		.amdhsa_system_vgpr_workitem_id 1
		.amdhsa_next_free_vgpr 33
		.amdhsa_next_free_sgpr 16
		.amdhsa_reserve_vcc 1
		.amdhsa_float_round_mode_32 0
		.amdhsa_float_round_mode_16_64 0
		.amdhsa_float_denorm_mode_32 3
		.amdhsa_float_denorm_mode_16_64 3
		.amdhsa_dx10_clamp 1
		.amdhsa_ieee_mode 1
		.amdhsa_fp16_overflow 0
		.amdhsa_workgroup_processor_mode 1
		.amdhsa_memory_ordered 1
		.amdhsa_forward_progress 0
		.amdhsa_shared_vgpr_count 0
		.amdhsa_exception_fp_ieee_invalid_op 0
		.amdhsa_exception_fp_denorm_src 0
		.amdhsa_exception_fp_ieee_div_zero 0
		.amdhsa_exception_fp_ieee_overflow 0
		.amdhsa_exception_fp_ieee_underflow 0
		.amdhsa_exception_fp_ieee_inexact 0
		.amdhsa_exception_int_div_zero 0
	.end_amdhsa_kernel
	.text
.Lfunc_end0:
	.size	_Z16computeMinMaxLv1Pf, .Lfunc_end0-_Z16computeMinMaxLv1Pf
                                        ; -- End function
	.section	.AMDGPU.csdata,"",@progbits
; Kernel info:
; codeLenInByte = 1428
; NumSgprs: 18
; NumVgprs: 33
; ScratchSize: 0
; MemoryBound: 0
; FloatMode: 240
; IeeeMode: 1
; LDSByteSize: 256 bytes/workgroup (compile time only)
; SGPRBlocks: 2
; VGPRBlocks: 4
; NumSGPRsForWavesPerEU: 18
; NumVGPRsForWavesPerEU: 33
; Occupancy: 16
; WaveLimiterHint : 0
; COMPUTE_PGM_RSRC2:SCRATCH_EN: 0
; COMPUTE_PGM_RSRC2:USER_SGPR: 13
; COMPUTE_PGM_RSRC2:TRAP_HANDLER: 0
; COMPUTE_PGM_RSRC2:TGID_X_EN: 1
; COMPUTE_PGM_RSRC2:TGID_Y_EN: 1
; COMPUTE_PGM_RSRC2:TGID_Z_EN: 1
; COMPUTE_PGM_RSRC2:TIDIG_COMP_CNT: 1
	.text
	.protected	_Z10compactLv1fPKfPjS1_ ; -- Begin function _Z10compactLv1fPKfPjS1_
	.globl	_Z10compactLv1fPKfPjS1_
	.p2align	8
	.type	_Z10compactLv1fPKfPjS1_,@function
_Z10compactLv1fPKfPjS1_:                ; @_Z10compactLv1fPKfPjS1_
; %bb.0:
	s_clause 0x1
	s_load_b64 s[2:3], s[0:1], 0x8
	s_load_b32 s5, s[0:1], 0x0
	v_lshl_add_u32 v3, s15, 7, v0
	v_mov_b32_e32 v2, 0
	s_mov_b32 s4, exec_lo
                                        ; implicit-def: $sgpr6
	s_delay_alu instid0(VALU_DEP_2) | instskip(NEXT) | instid1(VALU_DEP_1)
	v_lshlrev_b32_e32 v1, 1, v3
	v_lshlrev_b64 v[1:2], 2, v[1:2]
	s_waitcnt lgkmcnt(0)
	s_delay_alu instid0(VALU_DEP_1) | instskip(NEXT) | instid1(VALU_DEP_2)
	v_add_co_u32 v1, vcc_lo, s2, v1
	v_add_co_ci_u32_e32 v2, vcc_lo, s3, v2, vcc_lo
	s_mov_b32 s3, 1
	global_load_b32 v4, v[1:2], off
	s_waitcnt vmcnt(0)
	v_cmp_nge_f32_e64 s2, s5, v4
	v_cmpx_ge_f32_e32 s5, v4
	s_cbranch_execz .LBB1_2
; %bb.1:
	global_load_b32 v1, v[1:2], off offset:4
	s_and_not1_b32 s2, s2, exec_lo
	s_mov_b32 s6, 0
	s_waitcnt vmcnt(0)
	v_cmp_nle_f32_e32 vcc_lo, s5, v1
	s_and_b32 s5, vcc_lo, exec_lo
	s_delay_alu instid0(SALU_CYCLE_1)
	s_or_b32 s2, s2, s5
.LBB1_2:
	s_or_b32 exec_lo, exec_lo, s4
	v_mov_b32_e32 v1, s3
	s_and_saveexec_b32 s3, s2
; %bb.3:
	v_mov_b32_e32 v1, 0
	s_or_b32 s6, s6, exec_lo
; %bb.4:
	s_or_b32 exec_lo, exec_lo, s3
	v_mbcnt_lo_u32_b32 v6, -1, 0
	s_mov_b32 s4, exec_lo
	s_delay_alu instid0(VALU_DEP_1) | instskip(SKIP_1) | instid1(VALU_DEP_2)
	v_add_nc_u32_e32 v2, -1, v6
	v_add_nc_u32_e32 v7, -2, v6
	v_cmp_gt_i32_e32 vcc_lo, 0, v2
	v_cndmask_b32_e32 v2, v2, v6, vcc_lo
	s_delay_alu instid0(VALU_DEP_3) | instskip(SKIP_1) | instid1(VALU_DEP_3)
	v_cmp_gt_i32_e32 vcc_lo, 0, v7
	v_and_b32_e32 v4, 31, v0
	v_lshlrev_b32_e32 v2, 2, v2
	v_cndmask_b32_e32 v7, v7, v6, vcc_lo
	s_delay_alu instid0(VALU_DEP_3) | instskip(SKIP_4) | instid1(VALU_DEP_2)
	v_cmp_eq_u32_e32 vcc_lo, 0, v4
	ds_bpermute_b32 v5, v2, v1
	s_waitcnt lgkmcnt(0)
	v_cndmask_b32_e64 v8, v5, 0, vcc_lo
	v_lshlrev_b32_e32 v5, 2, v7
	v_add_nc_u32_e32 v1, v8, v1
	v_add_nc_u32_e32 v8, -4, v6
	ds_bpermute_b32 v7, v5, v1
	v_cmp_gt_i32_e64 s2, 0, v8
	s_delay_alu instid0(VALU_DEP_1) | instskip(SKIP_1) | instid1(VALU_DEP_2)
	v_cndmask_b32_e64 v8, v8, v6, s2
	v_cmp_gt_u32_e64 s2, 2, v4
	v_lshlrev_b32_e32 v8, 2, v8
	s_waitcnt lgkmcnt(0)
	s_delay_alu instid0(VALU_DEP_2) | instskip(NEXT) | instid1(VALU_DEP_1)
	v_cndmask_b32_e64 v7, v7, 0, s2
	v_add_nc_u32_e32 v1, v7, v1
	ds_bpermute_b32 v7, v8, v1
	v_add_nc_u32_e32 v8, -8, v6
	s_delay_alu instid0(VALU_DEP_1) | instskip(NEXT) | instid1(VALU_DEP_1)
	v_cmp_gt_i32_e64 s3, 0, v8
	v_cndmask_b32_e64 v8, v8, v6, s3
	v_cmp_lt_u32_e64 s3, 3, v4
	s_delay_alu instid0(VALU_DEP_2) | instskip(SKIP_1) | instid1(VALU_DEP_2)
	v_lshlrev_b32_e32 v8, 2, v8
	s_waitcnt lgkmcnt(0)
	v_cndmask_b32_e64 v7, 0, v7, s3
	s_delay_alu instid0(VALU_DEP_1) | instskip(SKIP_2) | instid1(VALU_DEP_1)
	v_add_nc_u32_e32 v1, v7, v1
	ds_bpermute_b32 v7, v8, v1
	v_add_nc_u32_e32 v8, -16, v6
	v_cmp_gt_i32_e64 s3, 0, v8
	s_delay_alu instid0(VALU_DEP_1) | instskip(SKIP_1) | instid1(VALU_DEP_2)
	v_cndmask_b32_e64 v6, v8, v6, s3
	v_cmp_lt_u32_e64 s3, 7, v4
	v_lshlrev_b32_e32 v6, 2, v6
	s_waitcnt lgkmcnt(0)
	s_delay_alu instid0(VALU_DEP_2) | instskip(SKIP_1) | instid1(VALU_DEP_2)
	v_cndmask_b32_e64 v7, 0, v7, s3
	v_cmp_lt_u32_e64 s3, 15, v4
	v_add_nc_u32_e32 v1, v7, v1
	ds_bpermute_b32 v6, v6, v1
	s_waitcnt lgkmcnt(0)
	v_cndmask_b32_e64 v7, 0, v6, s3
	v_lshrrev_b32_e32 v6, 5, v0
	s_delay_alu instid0(VALU_DEP_2)
	v_add_nc_u32_e32 v1, v7, v1
	v_cmpx_eq_u32_e32 31, v4
	s_cbranch_execz .LBB1_6
; %bb.5:
	s_delay_alu instid0(VALU_DEP_3)
	v_lshlrev_b32_e32 v7, 2, v6
	ds_store_b32 v7, v1
.LBB1_6:
	s_or_b32 exec_lo, exec_lo, s4
	v_cmp_lt_u32_e64 s3, 31, v0
	s_mov_b32 s5, exec_lo
	s_waitcnt lgkmcnt(0)
	s_barrier
	buffer_gl0_inv
	v_cmpx_gt_u32_e32 32, v0
	s_cbranch_execz .LBB1_8
; %bb.7:
	v_lshlrev_b32_e32 v4, 2, v4
	ds_load_b32 v7, v4
	s_waitcnt lgkmcnt(0)
	ds_bpermute_b32 v2, v2, v7
	s_waitcnt lgkmcnt(0)
	v_cndmask_b32_e64 v2, v2, 0, vcc_lo
	s_delay_alu instid0(VALU_DEP_1) | instskip(SKIP_3) | instid1(VALU_DEP_1)
	v_add_nc_u32_e32 v2, v2, v7
	ds_bpermute_b32 v5, v5, v2
	s_waitcnt lgkmcnt(0)
	v_cndmask_b32_e64 v5, v5, 0, s2
	v_add_nc_u32_e32 v2, v5, v2
	ds_store_b32 v4, v2
.LBB1_8:
	s_or_b32 exec_lo, exec_lo, s5
	s_waitcnt lgkmcnt(0)
	s_barrier
	buffer_gl0_inv
	s_and_saveexec_b32 s2, s3
	s_cbranch_execz .LBB1_10
; %bb.9:
	v_lshl_add_u32 v2, v6, 2, -4
	ds_load_b32 v2, v2
	s_waitcnt lgkmcnt(0)
	v_add_nc_u32_e32 v1, v2, v1
.LBB1_10:
	s_or_b32 exec_lo, exec_lo, s2
	s_load_b64 s[4:5], s[0:1], 0x10
	v_cmp_eq_u32_e32 vcc_lo, 0x7f, v0
	s_delay_alu instid0(VALU_DEP_2) | instskip(SKIP_1) | instid1(VALU_DEP_1)
	v_cmp_ne_u32_e64 s2, 0, v1
	s_mov_b32 s3, 0
	s_and_b32 s7, vcc_lo, s2
	s_delay_alu instid0(SALU_CYCLE_1)
	s_and_saveexec_b32 s2, s7
	s_cbranch_execz .LBB1_16
; %bb.11:
	s_load_b64 s[0:1], s[0:1], 0x18
	s_mov_b32 s7, exec_lo
                                        ; implicit-def: $vgpr0
.LBB1_12:                               ; =>This Inner Loop Header: Depth=1
	s_delay_alu instid0(SALU_CYCLE_1) | instskip(NEXT) | instid1(SALU_CYCLE_1)
	s_ctz_i32_b32 s8, s7
	v_readlane_b32 s9, v1, s8
	s_lshl_b32 s10, 1, s8
	v_writelane_b32 v0, s3, s8
	s_and_not1_b32 s7, s7, s10
	s_delay_alu instid0(VALU_DEP_2)
	s_add_i32 s3, s3, s9
	s_cmp_lg_u32 s7, 0
	s_cbranch_scc1 .LBB1_12
; %bb.13:
	v_mbcnt_lo_u32_b32 v2, exec_lo, 0
	s_delay_alu instid0(VALU_DEP_1) | instskip(SKIP_1) | instid1(SALU_CYCLE_1)
	v_cmp_eq_u32_e32 vcc_lo, 0, v2
                                        ; implicit-def: $vgpr2
	s_and_saveexec_b32 s7, vcc_lo
	s_xor_b32 s7, exec_lo, s7
	s_cbranch_execz .LBB1_15
; %bb.14:
	v_mov_b32_e32 v2, 0
	v_mov_b32_e32 v4, s3
	s_waitcnt lgkmcnt(0)
	global_atomic_add_u32 v2, v2, v4, s[0:1] glc
.LBB1_15:
	s_or_b32 exec_lo, exec_lo, s7
	s_waitcnt vmcnt(0) lgkmcnt(0)
	v_readfirstlane_b32 s0, v2
	v_mov_b32_e32 v2, 0
	s_delay_alu instid0(VALU_DEP_2)
	v_add_nc_u32_e32 v0, s0, v0
	ds_store_b32 v2, v0 offset:124
.LBB1_16:
	s_or_b32 exec_lo, exec_lo, s2
	s_xor_b32 s0, s6, -1
	s_waitcnt lgkmcnt(0)
	s_barrier
	buffer_gl0_inv
	s_and_saveexec_b32 s1, s0
	s_cbranch_execz .LBB1_18
; %bb.17:
	v_mov_b32_e32 v2, 0
	ds_load_b32 v0, v2 offset:124
	s_waitcnt lgkmcnt(0)
	v_add3_u32 v1, v1, v0, -1
	s_delay_alu instid0(VALU_DEP_1) | instskip(NEXT) | instid1(VALU_DEP_1)
	v_lshlrev_b64 v[0:1], 2, v[1:2]
	v_add_co_u32 v0, vcc_lo, s4, v0
	s_delay_alu instid0(VALU_DEP_2)
	v_add_co_ci_u32_e32 v1, vcc_lo, s5, v1, vcc_lo
	global_store_b32 v[0:1], v3, off
.LBB1_18:
	s_nop 0
	s_sendmsg sendmsg(MSG_DEALLOC_VGPRS)
	s_endpgm
	.section	.rodata,"a",@progbits
	.p2align	6, 0x0
	.amdhsa_kernel _Z10compactLv1fPKfPjS1_
		.amdhsa_group_segment_fixed_size 128
		.amdhsa_private_segment_fixed_size 0
		.amdhsa_kernarg_size 32
		.amdhsa_user_sgpr_count 15
		.amdhsa_user_sgpr_dispatch_ptr 0
		.amdhsa_user_sgpr_queue_ptr 0
		.amdhsa_user_sgpr_kernarg_segment_ptr 1
		.amdhsa_user_sgpr_dispatch_id 0
		.amdhsa_user_sgpr_private_segment_size 0
		.amdhsa_wavefront_size32 1
		.amdhsa_uses_dynamic_stack 0
		.amdhsa_enable_private_segment 0
		.amdhsa_system_sgpr_workgroup_id_x 1
		.amdhsa_system_sgpr_workgroup_id_y 0
		.amdhsa_system_sgpr_workgroup_id_z 0
		.amdhsa_system_sgpr_workgroup_info 0
		.amdhsa_system_vgpr_workitem_id 0
		.amdhsa_next_free_vgpr 9
		.amdhsa_next_free_sgpr 16
		.amdhsa_reserve_vcc 1
		.amdhsa_float_round_mode_32 0
		.amdhsa_float_round_mode_16_64 0
		.amdhsa_float_denorm_mode_32 3
		.amdhsa_float_denorm_mode_16_64 3
		.amdhsa_dx10_clamp 1
		.amdhsa_ieee_mode 1
		.amdhsa_fp16_overflow 0
		.amdhsa_workgroup_processor_mode 1
		.amdhsa_memory_ordered 1
		.amdhsa_forward_progress 0
		.amdhsa_shared_vgpr_count 0
		.amdhsa_exception_fp_ieee_invalid_op 0
		.amdhsa_exception_fp_denorm_src 0
		.amdhsa_exception_fp_ieee_div_zero 0
		.amdhsa_exception_fp_ieee_overflow 0
		.amdhsa_exception_fp_ieee_underflow 0
		.amdhsa_exception_fp_ieee_inexact 0
		.amdhsa_exception_int_div_zero 0
	.end_amdhsa_kernel
	.text
.Lfunc_end1:
	.size	_Z10compactLv1fPKfPjS1_, .Lfunc_end1-_Z10compactLv1fPKfPjS1_
                                        ; -- End function
	.section	.AMDGPU.csdata,"",@progbits
; Kernel info:
; codeLenInByte = 976
; NumSgprs: 18
; NumVgprs: 9
; ScratchSize: 0
; MemoryBound: 0
; FloatMode: 240
; IeeeMode: 1
; LDSByteSize: 128 bytes/workgroup (compile time only)
; SGPRBlocks: 2
; VGPRBlocks: 1
; NumSGPRsForWavesPerEU: 18
; NumVGPRsForWavesPerEU: 9
; Occupancy: 16
; WaveLimiterHint : 0
; COMPUTE_PGM_RSRC2:SCRATCH_EN: 0
; COMPUTE_PGM_RSRC2:USER_SGPR: 15
; COMPUTE_PGM_RSRC2:TRAP_HANDLER: 0
; COMPUTE_PGM_RSRC2:TGID_X_EN: 1
; COMPUTE_PGM_RSRC2:TGID_Y_EN: 0
; COMPUTE_PGM_RSRC2:TGID_Z_EN: 0
; COMPUTE_PGM_RSRC2:TIDIG_COMP_CNT: 0
	.text
	.protected	_Z16computeMinMaxLv2PKjPf ; -- Begin function _Z16computeMinMaxLv2PKjPf
	.globl	_Z16computeMinMaxLv2PKjPf
	.p2align	8
	.type	_Z16computeMinMaxLv2PKjPf,@function
_Z16computeMinMaxLv2PKjPf:              ; @_Z16computeMinMaxLv2PKjPf
; %bb.0:
	s_load_b128 s[0:3], s[0:1], 0x0
	v_bfe_u32 v3, v0, 10, 10
	s_mov_b32 s4, s15
	s_mov_b32 s5, 0
	v_and_b32_e32 v6, 0x3ff, v0
	s_lshl_b64 s[6:7], s[4:5], 2
	v_mul_u32_u24_e32 v1, 0x3334, v3
	s_delay_alu instid0(VALU_DEP_1) | instskip(NEXT) | instid1(VALU_DEP_1)
	v_lshrrev_b32_e32 v1, 16, v1
	v_mul_lo_u16 v1, v1, 5
	s_waitcnt lgkmcnt(0)
	s_add_u32 s0, s0, s6
	s_addc_u32 s1, s1, s7
	s_delay_alu instid0(VALU_DEP_1) | instskip(SKIP_2) | instid1(VALU_DEP_2)
	v_sub_nc_u16 v0, v3, v1
	s_load_b32 s0, s[0:1], 0x0
	v_and_b32_e32 v1, 3, v6
	v_mul_lo_u16 v0, v0, 3
	s_delay_alu instid0(VALU_DEP_1) | instskip(NEXT) | instid1(VALU_DEP_1)
	v_add_nc_u32_e32 v0, v0, v1
	v_or_b32_e32 v0, 0xfffffe00, v0
	s_waitcnt lgkmcnt(0)
	s_mul_hi_u32 s1, s0, 0xf0f0f0f1
	s_delay_alu instid0(SALU_CYCLE_1) | instskip(NEXT) | instid1(SALU_CYCLE_1)
	s_lshr_b32 s1, s1, 6
	s_mulk_i32 s1, 0x44
	s_delay_alu instid0(SALU_CYCLE_1)
	s_sub_i32 s1, s0, s1
	s_mul_hi_u32 s0, s0, 0xe2c4a689
	v_mad_u64_u32 v[1:2], null, s1, 15, v[0:1]
	v_mbcnt_lo_u32_b32 v2, -1, 0
	s_lshr_b32 s1, s0, 12
	s_mul_i32 s0, s15, 0xe1
	s_mul_i32 s1, s1, 63
	s_delay_alu instid0(VALU_DEP_1) | instskip(NEXT) | instid1(VALU_DEP_3)
	v_cmp_gt_u32_e32 vcc_lo, 24, v2
	v_cvt_f32_i32_e32 v0, v1
	s_add_i32 s4, s1, 0xfffffe00
	s_delay_alu instid0(SALU_CYCLE_1) | instskip(SKIP_3) | instid1(VALU_DEP_4)
	v_cvt_f32_i32_e32 v4, s4
	v_cndmask_b32_e64 v1, 0, 1, vcc_lo
	v_cmp_gt_u32_e32 vcc_lo, 28, v2
	v_mul_f32_e32 v0, 0x3b000000, v0
	v_mul_f32_e32 v9, 0x3b000000, v4
	s_delay_alu instid0(VALU_DEP_4)
	v_lshlrev_b32_e32 v1, 3, v1
	v_cndmask_b32_e64 v7, 0, 1, vcc_lo
	v_cmp_gt_u32_e32 vcc_lo, 30, v2
	v_mul_f32_e32 v4, 0x41800000, v0
	v_mul_f32_e32 v5, v0, v0
	v_add_lshl_u32 v0, s0, v3, 1
	v_cndmask_b32_e64 v8, 0, 1, vcc_lo
	v_cmp_ne_u32_e32 vcc_lo, 31, v2
	s_delay_alu instid0(VALU_DEP_4) | instskip(NEXT) | instid1(VALU_DEP_3)
	v_fma_f32 v12, v9, v9, v5
	v_lshlrev_b32_e32 v14, 1, v8
	v_add_co_ci_u32_e32 v11, vcc_lo, 0, v2, vcc_lo
	s_delay_alu instid0(VALU_DEP_3) | instskip(SKIP_1) | instid1(VALU_DEP_1)
	v_fmac_f32_e32 v12, v9, v9
	v_mul_f32_e32 v3, v9, v4
	v_fma_f32 v10, -v9, v3, 1.0
	v_lshlrev_b32_e32 v13, 2, v7
	v_add_lshl_u32 v7, v1, v2, 2
	v_add_lshl_u32 v9, v14, v2, 2
	s_delay_alu instid0(VALU_DEP_4)
	v_dual_mov_b32 v3, 0 :: v_dual_fmac_f32 v10, -4.0, v12
	v_cmp_eq_u32_e32 vcc_lo, 0, v6
	v_lshlrev_b32_e32 v6, 2, v11
	v_add_lshl_u32 v8, v13, v2, 2
	s_branch .LBB2_2
.LBB2_1:                                ;   in Loop: Header=BB2_2 Depth=1
	s_or_b32 exec_lo, exec_lo, s4
	s_add_i32 s5, s5, 7
	s_delay_alu instid0(SALU_CYCLE_1)
	s_cmp_eq_u32 s5, 63
	s_cbranch_scc1 .LBB2_4
.LBB2_2:                                ; =>This Inner Loop Header: Depth=1
	s_add_i32 s4, s1, s5
	s_delay_alu instid0(SALU_CYCLE_1) | instskip(SKIP_3) | instid1(SALU_CYCLE_1)
	s_add_i32 s0, s4, 0xfffffe01
	s_add_i32 s6, s4, 0xfffffe04
	v_cvt_f32_i32_e32 v1, s0
	s_add_i32 s0, s4, 0xfffffe02
	v_cvt_f32_i32_e32 v2, s0
	s_add_i32 s0, s4, 0xfffffe03
	s_delay_alu instid0(VALU_DEP_2) | instskip(SKIP_3) | instid1(VALU_DEP_3)
	v_mul_f32_e32 v1, 0x3b000000, v1
	s_waitcnt lgkmcnt(0)
	v_cvt_f32_i32_e32 v13, s0
	v_mul_f32_e32 v2, 0x3b000000, v2
	v_fma_f32 v12, v1, v1, v5
	s_delay_alu instid0(VALU_DEP_2) | instskip(SKIP_1) | instid1(VALU_DEP_3)
	v_dual_mul_f32 v13, 0x3b000000, v13 :: v_dual_mul_f32 v14, v4, v2
	v_fma_f32 v15, v2, v2, v5
	v_fmac_f32_e32 v12, v1, v1
	s_delay_alu instid0(VALU_DEP_3) | instskip(NEXT) | instid1(VALU_DEP_3)
	v_fma_f32 v14, -v2, v14, 1.0
	v_fmac_f32_e32 v15, v2, v2
	v_mul_f32_e32 v11, v4, v1
	v_mul_f32_e32 v2, v4, v13
	s_delay_alu instid0(VALU_DEP_3) | instskip(NEXT) | instid1(VALU_DEP_3)
	v_fmac_f32_e32 v14, -4.0, v15
	v_fma_f32 v11, -v1, v11, 1.0
	v_cvt_f32_i32_e32 v1, s6
	s_delay_alu instid0(VALU_DEP_4) | instskip(NEXT) | instid1(VALU_DEP_3)
	v_fma_f32 v2, -v13, v2, 1.0
	v_fmac_f32_e32 v11, -4.0, v12
	v_fma_f32 v12, v13, v13, v5
	s_delay_alu instid0(VALU_DEP_2) | instskip(NEXT) | instid1(VALU_DEP_1)
	v_cmp_lt_f32_e64 s0, v11, v10
	v_cndmask_b32_e64 v15, v10, v11, s0
	v_cmp_gt_f32_e64 s0, v11, v10
	s_delay_alu instid0(VALU_DEP_1) | instskip(NEXT) | instid1(VALU_DEP_3)
	v_cndmask_b32_e64 v10, v10, v11, s0
	v_cmp_lt_f32_e64 s0, v14, v15
	s_delay_alu instid0(VALU_DEP_1) | instskip(NEXT) | instid1(VALU_DEP_3)
	v_cndmask_b32_e64 v11, v15, v14, s0
	v_cmp_gt_f32_e64 s0, v14, v10
	s_delay_alu instid0(VALU_DEP_1) | instskip(SKIP_1) | instid1(SALU_CYCLE_1)
	v_cndmask_b32_e64 v10, v10, v14, s0
	s_add_i32 s0, s4, 0xfffffe05
	v_cvt_f32_i32_e32 v14, s0
	v_fmac_f32_e32 v12, v13, v13
	s_delay_alu instid0(VALU_DEP_1) | instskip(NEXT) | instid1(VALU_DEP_1)
	v_dual_mul_f32 v1, 0x3b000000, v1 :: v_dual_fmac_f32 v2, -4.0, v12
	v_fma_f32 v13, v1, v1, v5
	s_delay_alu instid0(VALU_DEP_2) | instskip(NEXT) | instid1(VALU_DEP_2)
	v_cmp_lt_f32_e64 s0, v2, v11
	v_fmac_f32_e32 v13, v1, v1
	s_delay_alu instid0(VALU_DEP_2) | instskip(SKIP_2) | instid1(SALU_CYCLE_1)
	v_cndmask_b32_e64 v11, v11, v2, s0
	s_add_i32 s0, s4, 0xfffffe06
	s_addk_i32 s4, 0xfe07
	v_cvt_f32_i32_e32 v15, s4
	s_delay_alu instid0(VALU_DEP_1) | instskip(NEXT) | instid1(VALU_DEP_1)
	v_dual_mul_f32 v12, v4, v1 :: v_dual_mul_f32 v15, 0x3b000000, v15
	v_fma_f32 v12, -v1, v12, 1.0
	v_mul_f32_e32 v1, 0x3b000000, v14
	v_cvt_f32_i32_e32 v14, s0
	v_cmp_gt_f32_e64 s0, v2, v10
	s_delay_alu instid0(VALU_DEP_2) | instskip(NEXT) | instid1(VALU_DEP_2)
	v_mul_f32_e32 v14, 0x3b000000, v14
	v_cndmask_b32_e64 v2, v10, v2, s0
	v_fmac_f32_e32 v12, -4.0, v13
	v_mul_f32_e32 v10, v4, v1
	v_fma_f32 v13, v1, v1, v5
	s_delay_alu instid0(VALU_DEP_2) | instskip(SKIP_1) | instid1(VALU_DEP_3)
	v_fma_f32 v16, -v1, v10, 1.0
	v_fma_f32 v10, v14, v14, v5
	v_fmac_f32_e32 v13, v1, v1
	v_mul_f32_e32 v1, v4, v14
	v_cmp_lt_f32_e64 s0, v12, v11
	s_delay_alu instid0(VALU_DEP_4) | instskip(NEXT) | instid1(VALU_DEP_3)
	v_fmac_f32_e32 v10, v14, v14
	v_fma_f32 v1, -v14, v1, 1.0
	s_delay_alu instid0(VALU_DEP_3) | instskip(SKIP_4) | instid1(VALU_DEP_4)
	v_cndmask_b32_e64 v11, v11, v12, s0
	v_cmp_gt_f32_e64 s0, v12, v2
	v_fmac_f32_e32 v16, -4.0, v13
	v_fma_f32 v13, v15, v15, v5
	v_fmac_f32_e32 v1, -4.0, v10
	v_cndmask_b32_e64 v2, v2, v12, s0
	s_delay_alu instid0(VALU_DEP_4) | instskip(SKIP_2) | instid1(VALU_DEP_3)
	v_cmp_lt_f32_e64 s0, v16, v11
	v_mul_f32_e32 v12, v4, v15
	v_fmac_f32_e32 v13, v15, v15
	v_cndmask_b32_e64 v11, v11, v16, s0
	v_cmp_gt_f32_e64 s0, v16, v2
	s_delay_alu instid0(VALU_DEP_4) | instskip(NEXT) | instid1(VALU_DEP_2)
	v_fma_f32 v10, -v15, v12, 1.0
	v_cndmask_b32_e64 v2, v2, v16, s0
	s_delay_alu instid0(VALU_DEP_4) | instskip(NEXT) | instid1(VALU_DEP_3)
	v_cmp_lt_f32_e64 s0, v1, v11
	v_fmac_f32_e32 v10, -4.0, v13
	s_delay_alu instid0(VALU_DEP_2) | instskip(NEXT) | instid1(VALU_DEP_4)
	v_cndmask_b32_e64 v11, v11, v1, s0
	v_cmp_gt_f32_e64 s0, v1, v2
	s_delay_alu instid0(VALU_DEP_1) | instskip(NEXT) | instid1(VALU_DEP_3)
	v_cndmask_b32_e64 v1, v2, v1, s0
	v_cmp_lt_f32_e64 s0, v10, v11
	s_delay_alu instid0(VALU_DEP_1) | instskip(NEXT) | instid1(VALU_DEP_3)
	v_cndmask_b32_e64 v2, v11, v10, s0
	v_cmp_gt_f32_e64 s0, v10, v1
	ds_bpermute_b32 v11, v7, v2
	v_cndmask_b32_e64 v1, v1, v10, s0
	ds_bpermute_b32 v12, v7, v1
	s_waitcnt lgkmcnt(1)
	v_cmp_gt_f32_e64 s0, v2, v11
	s_delay_alu instid0(VALU_DEP_1)
	v_cndmask_b32_e64 v2, v2, v11, s0
	s_waitcnt lgkmcnt(0)
	v_cmp_lt_f32_e64 s0, v1, v12
	ds_bpermute_b32 v11, v8, v2
	v_cndmask_b32_e64 v1, v1, v12, s0
	ds_bpermute_b32 v12, v8, v1
	s_waitcnt lgkmcnt(1)
	v_cmp_gt_f32_e64 s0, v2, v11
	s_delay_alu instid0(VALU_DEP_1)
	v_cndmask_b32_e64 v2, v2, v11, s0
	s_waitcnt lgkmcnt(0)
	v_cmp_lt_f32_e64 s0, v1, v12
	ds_bpermute_b32 v11, v9, v2
	v_cndmask_b32_e64 v1, v1, v12, s0
	ds_bpermute_b32 v12, v9, v1
	s_waitcnt lgkmcnt(1)
	v_cmp_gt_f32_e64 s0, v2, v11
	s_delay_alu instid0(VALU_DEP_1) | instskip(SKIP_2) | instid1(VALU_DEP_1)
	v_cndmask_b32_e64 v11, v2, v11, s0
	s_waitcnt lgkmcnt(0)
	v_cmp_lt_f32_e64 s0, v1, v12
	v_cndmask_b32_e64 v2, v1, v12, s0
	ds_bpermute_b32 v12, v6, v11
	ds_bpermute_b32 v13, v6, v2
	s_and_saveexec_b32 s4, vcc_lo
	s_cbranch_execz .LBB2_1
; %bb.3:                                ;   in Loop: Header=BB2_2 Depth=1
	s_waitcnt lgkmcnt(0)
	v_cmp_lt_f32_e64 s0, v2, v13
	v_mov_b32_e32 v1, v3
	v_add_nc_u32_e32 v17, 50, v0
	s_delay_alu instid0(VALU_DEP_3) | instskip(SKIP_1) | instid1(VALU_DEP_4)
	v_cndmask_b32_e64 v15, v2, v13, s0
	v_add_nc_u32_e32 v2, 1, v0
	v_lshlrev_b64 v[13:14], 2, v[0:1]
	v_cmp_gt_f32_e64 s0, v11, v12
	s_delay_alu instid0(VALU_DEP_3) | instskip(NEXT) | instid1(VALU_DEP_2)
	v_lshlrev_b64 v[0:1], 2, v[2:3]
	v_cndmask_b32_e64 v16, v11, v12, s0
	s_delay_alu instid0(VALU_DEP_4) | instskip(NEXT) | instid1(VALU_DEP_1)
	v_add_co_u32 v11, s0, s2, v13
	v_add_co_ci_u32_e64 v12, s0, s3, v14, s0
	s_delay_alu instid0(VALU_DEP_4)
	v_add_co_u32 v13, s0, s2, v0
	v_mov_b32_e32 v0, v17
	v_add_co_ci_u32_e64 v14, s0, s3, v1, s0
	s_clause 0x1
	global_store_b32 v[11:12], v16, off
	global_store_b32 v[13:14], v15, off
	s_branch .LBB2_1
.LBB2_4:
	s_nop 0
	s_sendmsg sendmsg(MSG_DEALLOC_VGPRS)
	s_endpgm
	.section	.rodata,"a",@progbits
	.p2align	6, 0x0
	.amdhsa_kernel _Z16computeMinMaxLv2PKjPf
		.amdhsa_group_segment_fixed_size 0
		.amdhsa_private_segment_fixed_size 0
		.amdhsa_kernarg_size 16
		.amdhsa_user_sgpr_count 15
		.amdhsa_user_sgpr_dispatch_ptr 0
		.amdhsa_user_sgpr_queue_ptr 0
		.amdhsa_user_sgpr_kernarg_segment_ptr 1
		.amdhsa_user_sgpr_dispatch_id 0
		.amdhsa_user_sgpr_private_segment_size 0
		.amdhsa_wavefront_size32 1
		.amdhsa_uses_dynamic_stack 0
		.amdhsa_enable_private_segment 0
		.amdhsa_system_sgpr_workgroup_id_x 1
		.amdhsa_system_sgpr_workgroup_id_y 0
		.amdhsa_system_sgpr_workgroup_id_z 0
		.amdhsa_system_sgpr_workgroup_info 0
		.amdhsa_system_vgpr_workitem_id 1
		.amdhsa_next_free_vgpr 18
		.amdhsa_next_free_sgpr 16
		.amdhsa_reserve_vcc 1
		.amdhsa_float_round_mode_32 0
		.amdhsa_float_round_mode_16_64 0
		.amdhsa_float_denorm_mode_32 3
		.amdhsa_float_denorm_mode_16_64 3
		.amdhsa_dx10_clamp 1
		.amdhsa_ieee_mode 1
		.amdhsa_fp16_overflow 0
		.amdhsa_workgroup_processor_mode 1
		.amdhsa_memory_ordered 1
		.amdhsa_forward_progress 0
		.amdhsa_shared_vgpr_count 0
		.amdhsa_exception_fp_ieee_invalid_op 0
		.amdhsa_exception_fp_denorm_src 0
		.amdhsa_exception_fp_ieee_div_zero 0
		.amdhsa_exception_fp_ieee_overflow 0
		.amdhsa_exception_fp_ieee_underflow 0
		.amdhsa_exception_fp_ieee_inexact 0
		.amdhsa_exception_int_div_zero 0
	.end_amdhsa_kernel
	.text
.Lfunc_end2:
	.size	_Z16computeMinMaxLv2PKjPf, .Lfunc_end2-_Z16computeMinMaxLv2PKjPf
                                        ; -- End function
	.section	.AMDGPU.csdata,"",@progbits
; Kernel info:
; codeLenInByte = 1428
; NumSgprs: 18
; NumVgprs: 18
; ScratchSize: 0
; MemoryBound: 0
; FloatMode: 240
; IeeeMode: 1
; LDSByteSize: 0 bytes/workgroup (compile time only)
; SGPRBlocks: 2
; VGPRBlocks: 2
; NumSGPRsForWavesPerEU: 18
; NumVGPRsForWavesPerEU: 18
; Occupancy: 16
; WaveLimiterHint : 0
; COMPUTE_PGM_RSRC2:SCRATCH_EN: 0
; COMPUTE_PGM_RSRC2:USER_SGPR: 15
; COMPUTE_PGM_RSRC2:TRAP_HANDLER: 0
; COMPUTE_PGM_RSRC2:TGID_X_EN: 1
; COMPUTE_PGM_RSRC2:TGID_Y_EN: 0
; COMPUTE_PGM_RSRC2:TGID_Z_EN: 0
; COMPUTE_PGM_RSRC2:TIDIG_COMP_CNT: 1
	.text
	.protected	_Z10compactLv2fPKfPKjPjjS3_ ; -- Begin function _Z10compactLv2fPKfPKjPjjS3_
	.globl	_Z10compactLv2fPKfPKjPjjS3_
	.p2align	8
	.type	_Z10compactLv2fPKfPKjPjjS3_,@function
_Z10compactLv2fPKfPKjPjjS3_:            ; @_Z10compactLv2fPKfPKjPjjS3_
; %bb.0:
	s_load_b32 s2, s[0:1], 0x20
	v_lshl_or_b32 v4, s15, 10, v0
	v_mov_b32_e32 v3, 0
	s_mov_b32 s8, -1
	s_delay_alu instid0(VALU_DEP_2) | instskip(NEXT) | instid1(VALU_DEP_1)
	v_mul_hi_u32 v1, 0x91a2b3c5, v4
	v_lshrrev_b32_e32 v1, 7, v1
	s_waitcnt lgkmcnt(0)
	s_delay_alu instid0(VALU_DEP_1)
	v_cmp_gt_u32_e32 vcc_lo, s2, v1
	s_and_saveexec_b32 s2, vcc_lo
	s_cbranch_execz .LBB3_6
; %bb.1:
	s_clause 0x1
	s_load_b64 s[4:5], s[0:1], 0x8
	s_load_b32 s6, s[0:1], 0x0
	v_dual_mov_b32 v3, 0 :: v_dual_lshlrev_b32 v2, 1, v4
	s_mov_b32 s7, exec_lo
                                        ; implicit-def: $sgpr3
	s_delay_alu instid0(VALU_DEP_1) | instskip(SKIP_1) | instid1(VALU_DEP_1)
	v_lshlrev_b64 v[2:3], 2, v[2:3]
	s_waitcnt lgkmcnt(0)
	v_add_co_u32 v2, vcc_lo, s4, v2
	s_delay_alu instid0(VALU_DEP_2)
	v_add_co_ci_u32_e32 v3, vcc_lo, s5, v3, vcc_lo
	s_mov_b32 s5, 1
	global_load_b32 v5, v[2:3], off
	s_waitcnt vmcnt(0)
	v_cmp_nge_f32_e64 s4, s6, v5
	v_cmpx_ge_f32_e32 s6, v5
	s_cbranch_execz .LBB3_3
; %bb.2:
	global_load_b32 v2, v[2:3], off offset:4
	s_and_not1_b32 s4, s4, exec_lo
	s_mov_b32 s3, 0
	s_waitcnt vmcnt(0)
	v_cmp_nle_f32_e32 vcc_lo, s6, v2
	s_and_b32 s6, vcc_lo, exec_lo
	s_delay_alu instid0(SALU_CYCLE_1)
	s_or_b32 s4, s4, s6
.LBB3_3:
	s_or_b32 exec_lo, exec_lo, s7
	v_mov_b32_e32 v3, s5
	s_and_saveexec_b32 s5, s4
; %bb.4:
	v_mov_b32_e32 v3, 0
	s_or_b32 s3, s3, exec_lo
; %bb.5:
	s_or_b32 exec_lo, exec_lo, s5
	s_delay_alu instid0(SALU_CYCLE_1)
	s_or_not1_b32 s8, s3, exec_lo
.LBB3_6:
	s_or_b32 exec_lo, exec_lo, s2
	v_mbcnt_lo_u32_b32 v8, -1, 0
	v_and_b32_e32 v5, 31, v0
	s_mov_b32 s7, exec_lo
	s_delay_alu instid0(VALU_DEP_2) | instskip(SKIP_1) | instid1(VALU_DEP_3)
	v_add_nc_u32_e32 v2, -1, v8
	v_add_nc_u32_e32 v7, -2, v8
	v_cmp_gt_u32_e64 s5, 16, v5
	s_delay_alu instid0(VALU_DEP_3) | instskip(SKIP_1) | instid1(VALU_DEP_4)
	v_cmp_gt_i32_e32 vcc_lo, 0, v2
	v_cndmask_b32_e32 v2, v2, v8, vcc_lo
	v_cmp_gt_i32_e32 vcc_lo, 0, v7
	s_delay_alu instid0(VALU_DEP_2)
	v_dual_cndmask_b32 v7, v7, v8 :: v_dual_lshlrev_b32 v2, 2, v2
	v_cmp_eq_u32_e32 vcc_lo, 0, v5
	ds_bpermute_b32 v6, v2, v3
	s_waitcnt lgkmcnt(0)
	v_cndmask_b32_e64 v9, v6, 0, vcc_lo
	v_lshlrev_b32_e32 v6, 2, v7
	s_delay_alu instid0(VALU_DEP_2) | instskip(SKIP_3) | instid1(VALU_DEP_1)
	v_add_nc_u32_e32 v3, v9, v3
	v_add_nc_u32_e32 v9, -4, v8
	ds_bpermute_b32 v7, v6, v3
	v_cmp_gt_i32_e64 s2, 0, v9
	v_cndmask_b32_e64 v9, v9, v8, s2
	v_cmp_gt_u32_e64 s2, 2, v5
	s_waitcnt lgkmcnt(0)
	s_delay_alu instid0(VALU_DEP_1) | instskip(NEXT) | instid1(VALU_DEP_3)
	v_cndmask_b32_e64 v10, v7, 0, s2
	v_lshlrev_b32_e32 v7, 2, v9
	s_delay_alu instid0(VALU_DEP_2) | instskip(SKIP_3) | instid1(VALU_DEP_1)
	v_add_nc_u32_e32 v3, v10, v3
	v_add_nc_u32_e32 v10, -8, v8
	ds_bpermute_b32 v9, v7, v3
	v_cmp_gt_i32_e64 s3, 0, v10
	v_cndmask_b32_e64 v10, v10, v8, s3
	v_cmp_gt_u32_e64 s3, 4, v5
	s_waitcnt lgkmcnt(0)
	s_delay_alu instid0(VALU_DEP_1) | instskip(NEXT) | instid1(VALU_DEP_3)
	v_cndmask_b32_e64 v11, v9, 0, s3
	;; [unrolled: 11-line block ×3, first 2 shown]
	v_lshlrev_b32_e32 v10, 2, v8
	s_delay_alu instid0(VALU_DEP_2) | instskip(SKIP_4) | instid1(VALU_DEP_2)
	v_add_nc_u32_e32 v3, v11, v3
	ds_bpermute_b32 v8, v10, v3
	s_waitcnt lgkmcnt(0)
	v_cndmask_b32_e64 v11, v8, 0, s5
	v_lshrrev_b32_e32 v8, 5, v0
	v_add_nc_u32_e32 v3, v11, v3
	v_cmpx_eq_u32_e32 31, v5
	s_cbranch_execz .LBB3_8
; %bb.7:
	s_delay_alu instid0(VALU_DEP_3)
	v_lshlrev_b32_e32 v11, 2, v8
	ds_store_b32 v11, v3
.LBB3_8:
	s_or_b32 exec_lo, exec_lo, s7
	v_cmp_lt_u32_e64 s6, 31, v0
	s_mov_b32 s9, exec_lo
	s_waitcnt lgkmcnt(0)
	s_barrier
	buffer_gl0_inv
	v_cmpx_gt_u32_e32 32, v0
	s_cbranch_execz .LBB3_10
; %bb.9:
	v_lshlrev_b32_e32 v5, 2, v5
	ds_load_b32 v11, v5
	s_waitcnt lgkmcnt(0)
	ds_bpermute_b32 v2, v2, v11
	s_waitcnt lgkmcnt(0)
	v_cndmask_b32_e64 v2, v2, 0, vcc_lo
	s_delay_alu instid0(VALU_DEP_1) | instskip(SKIP_3) | instid1(VALU_DEP_1)
	v_add_nc_u32_e32 v2, v2, v11
	ds_bpermute_b32 v6, v6, v2
	s_waitcnt lgkmcnt(0)
	v_cndmask_b32_e64 v6, v6, 0, s2
	v_add_nc_u32_e32 v2, v6, v2
	ds_bpermute_b32 v6, v7, v2
	s_waitcnt lgkmcnt(0)
	v_cndmask_b32_e64 v6, v6, 0, s3
	s_delay_alu instid0(VALU_DEP_1) | instskip(SKIP_3) | instid1(VALU_DEP_1)
	v_add_nc_u32_e32 v2, v6, v2
	ds_bpermute_b32 v6, v9, v2
	s_waitcnt lgkmcnt(0)
	v_cndmask_b32_e64 v6, v6, 0, s4
	v_add_nc_u32_e32 v2, v6, v2
	ds_bpermute_b32 v6, v10, v2
	s_waitcnt lgkmcnt(0)
	v_cndmask_b32_e64 v6, v6, 0, s5
	s_delay_alu instid0(VALU_DEP_1)
	v_add_nc_u32_e32 v2, v6, v2
	ds_store_b32 v5, v2
.LBB3_10:
	s_or_b32 exec_lo, exec_lo, s9
	s_waitcnt lgkmcnt(0)
	s_barrier
	buffer_gl0_inv
	s_and_saveexec_b32 s2, s6
	s_cbranch_execz .LBB3_12
; %bb.11:
	v_lshl_add_u32 v2, v8, 2, -4
	ds_load_b32 v2, v2
	s_waitcnt lgkmcnt(0)
	v_add_nc_u32_e32 v3, v2, v3
.LBB3_12:
	s_or_b32 exec_lo, exec_lo, s2
	s_load_b128 s[4:7], s[0:1], 0x10
	s_mov_b32 s2, exec_lo
	v_cmpx_eq_u32_e32 0x3ff, v0
	s_cbranch_execz .LBB3_18
; %bb.13:
	s_load_b64 s[0:1], s[0:1], 0x28
	s_mov_b32 s9, exec_lo
	s_mov_b32 s3, 0
                                        ; implicit-def: $vgpr0
.LBB3_14:                               ; =>This Inner Loop Header: Depth=1
	s_ctz_i32_b32 s10, s9
	s_delay_alu instid0(SALU_CYCLE_1) | instskip(SKIP_3) | instid1(VALU_DEP_2)
	v_readlane_b32 s11, v3, s10
	s_lshl_b32 s12, 1, s10
	v_writelane_b32 v0, s3, s10
	s_and_not1_b32 s9, s9, s12
	s_add_i32 s3, s3, s11
	s_cmp_lg_u32 s9, 0
	s_cbranch_scc1 .LBB3_14
; %bb.15:
	v_mbcnt_lo_u32_b32 v2, exec_lo, 0
	s_delay_alu instid0(VALU_DEP_1) | instskip(SKIP_1) | instid1(SALU_CYCLE_1)
	v_cmp_eq_u32_e32 vcc_lo, 0, v2
                                        ; implicit-def: $vgpr2
	s_and_saveexec_b32 s9, vcc_lo
	s_xor_b32 s9, exec_lo, s9
	s_cbranch_execz .LBB3_17
; %bb.16:
	v_dual_mov_b32 v2, 0 :: v_dual_mov_b32 v5, s3
	s_waitcnt lgkmcnt(0)
	global_atomic_add_u32 v2, v2, v5, s[0:1] glc
.LBB3_17:
	s_or_b32 exec_lo, exec_lo, s9
	s_waitcnt vmcnt(0) lgkmcnt(0)
	v_readfirstlane_b32 s0, v2
	v_mov_b32_e32 v2, 0
	s_delay_alu instid0(VALU_DEP_2)
	v_add_nc_u32_e32 v0, s0, v0
	ds_store_b32 v2, v0 offset:124
.LBB3_18:
	s_or_b32 exec_lo, exec_lo, s2
	s_xor_b32 s0, s8, -1
	s_waitcnt lgkmcnt(0)
	s_barrier
	buffer_gl0_inv
	s_and_saveexec_b32 s1, s0
	s_cbranch_execz .LBB3_20
; %bb.19:
	v_mov_b32_e32 v2, 0
	v_mul_lo_u32 v0, 0xe1, v1
	s_delay_alu instid0(VALU_DEP_2) | instskip(SKIP_4) | instid1(VALU_DEP_3)
	v_lshlrev_b64 v[5:6], 2, v[1:2]
	ds_load_b32 v10, v2 offset:124
	v_sub_nc_u32_e32 v8, v4, v0
	v_add_co_u32 v5, vcc_lo, s4, v5
	v_add_co_ci_u32_e32 v6, vcc_lo, s5, v6, vcc_lo
	v_and_b32_e32 v0, 0xff, v8
	global_load_b32 v7, v[5:6], off
	v_mul_lo_u16 v4, 0xcd, v0
	v_mul_lo_u16 v0, v0, 41
	s_delay_alu instid0(VALU_DEP_2) | instskip(NEXT) | instid1(VALU_DEP_2)
	v_lshrrev_b16 v9, 10, v4
	v_lshrrev_b16 v0, 10, v0
	s_delay_alu instid0(VALU_DEP_2) | instskip(NEXT) | instid1(VALU_DEP_2)
	v_mul_lo_u16 v4, v9, 52
	v_and_b32_e32 v0, 0xffff, v0
	s_delay_alu instid0(VALU_DEP_2) | instskip(NEXT) | instid1(VALU_DEP_1)
	v_lshrrev_b16 v4, 8, v4
	v_mul_lo_u16 v4, v4, 5
	s_waitcnt vmcnt(0)
	v_mul_hi_u32 v1, 0xf0f0f0f1, v7
	v_mul_hi_u32 v5, 0xe2c4a689, v7
	s_delay_alu instid0(VALU_DEP_2) | instskip(NEXT) | instid1(VALU_DEP_2)
	v_lshrrev_b32_e32 v1, 6, v1
	v_lshrrev_b32_e32 v5, 12, v5
	s_delay_alu instid0(VALU_DEP_2) | instskip(NEXT) | instid1(VALU_DEP_2)
	v_mul_hi_u32 v6, 0x3c3c3c4, v1
	v_mad_u32_u24 v11, v5, 9, v0
	s_delay_alu instid0(VALU_DEP_2) | instskip(NEXT) | instid1(VALU_DEP_1)
	v_mul_u32_u24_e32 v6, 0x44, v6
	v_sub_nc_u32_e32 v0, v1, v6
	v_sub_nc_u16 v6, v9, v4
	s_delay_alu instid0(VALU_DEP_2) | instskip(SKIP_1) | instid1(VALU_DEP_3)
	v_mad_u64_u32 v[4:5], null, 0x44, v11, v[0:1]
	v_mul_lo_u32 v1, 0x44, v1
	v_and_b32_e32 v0, 0xff, v6
	s_delay_alu instid0(VALU_DEP_1) | instskip(SKIP_4) | instid1(VALU_DEP_3)
	v_mad_u64_u32 v[5:6], null, v4, 5, v[0:1]
	v_mul_lo_u16 v4, v9, 5
	v_sub_nc_u32_e32 v0, v7, v1
	s_waitcnt lgkmcnt(0)
	v_add3_u32 v1, v3, v10, -1
	v_sub_nc_u16 v6, v8, v4
	s_delay_alu instid0(VALU_DEP_2) | instskip(SKIP_1) | instid1(VALU_DEP_3)
	v_mad_u64_u32 v[3:4], null, 0x44, v5, v[0:1]
	v_lshlrev_b64 v[1:2], 2, v[1:2]
	v_and_b32_e32 v0, 0xff, v6
	s_delay_alu instid0(VALU_DEP_1) | instskip(SKIP_1) | instid1(VALU_DEP_4)
	v_mad_u64_u32 v[4:5], null, v3, 5, v[0:1]
	v_add_co_u32 v0, vcc_lo, s6, v1
	v_add_co_ci_u32_e32 v1, vcc_lo, s7, v2, vcc_lo
	global_store_b32 v[0:1], v4, off
.LBB3_20:
	s_nop 0
	s_sendmsg sendmsg(MSG_DEALLOC_VGPRS)
	s_endpgm
	.section	.rodata,"a",@progbits
	.p2align	6, 0x0
	.amdhsa_kernel _Z10compactLv2fPKfPKjPjjS3_
		.amdhsa_group_segment_fixed_size 128
		.amdhsa_private_segment_fixed_size 0
		.amdhsa_kernarg_size 48
		.amdhsa_user_sgpr_count 15
		.amdhsa_user_sgpr_dispatch_ptr 0
		.amdhsa_user_sgpr_queue_ptr 0
		.amdhsa_user_sgpr_kernarg_segment_ptr 1
		.amdhsa_user_sgpr_dispatch_id 0
		.amdhsa_user_sgpr_private_segment_size 0
		.amdhsa_wavefront_size32 1
		.amdhsa_uses_dynamic_stack 0
		.amdhsa_enable_private_segment 0
		.amdhsa_system_sgpr_workgroup_id_x 1
		.amdhsa_system_sgpr_workgroup_id_y 0
		.amdhsa_system_sgpr_workgroup_id_z 0
		.amdhsa_system_sgpr_workgroup_info 0
		.amdhsa_system_vgpr_workitem_id 0
		.amdhsa_next_free_vgpr 12
		.amdhsa_next_free_sgpr 16
		.amdhsa_reserve_vcc 1
		.amdhsa_float_round_mode_32 0
		.amdhsa_float_round_mode_16_64 0
		.amdhsa_float_denorm_mode_32 3
		.amdhsa_float_denorm_mode_16_64 3
		.amdhsa_dx10_clamp 1
		.amdhsa_ieee_mode 1
		.amdhsa_fp16_overflow 0
		.amdhsa_workgroup_processor_mode 1
		.amdhsa_memory_ordered 1
		.amdhsa_forward_progress 0
		.amdhsa_shared_vgpr_count 0
		.amdhsa_exception_fp_ieee_invalid_op 0
		.amdhsa_exception_fp_denorm_src 0
		.amdhsa_exception_fp_ieee_div_zero 0
		.amdhsa_exception_fp_ieee_overflow 0
		.amdhsa_exception_fp_ieee_underflow 0
		.amdhsa_exception_fp_ieee_inexact 0
		.amdhsa_exception_int_div_zero 0
	.end_amdhsa_kernel
	.text
.Lfunc_end3:
	.size	_Z10compactLv2fPKfPKjPjjS3_, .Lfunc_end3-_Z10compactLv2fPKfPKjPjjS3_
                                        ; -- End function
	.section	.AMDGPU.csdata,"",@progbits
; Kernel info:
; codeLenInByte = 1416
; NumSgprs: 18
; NumVgprs: 12
; ScratchSize: 0
; MemoryBound: 0
; FloatMode: 240
; IeeeMode: 1
; LDSByteSize: 128 bytes/workgroup (compile time only)
; SGPRBlocks: 2
; VGPRBlocks: 1
; NumSGPRsForWavesPerEU: 18
; NumVGPRsForWavesPerEU: 12
; Occupancy: 16
; WaveLimiterHint : 0
; COMPUTE_PGM_RSRC2:SCRATCH_EN: 0
; COMPUTE_PGM_RSRC2:USER_SGPR: 15
; COMPUTE_PGM_RSRC2:TRAP_HANDLER: 0
; COMPUTE_PGM_RSRC2:TGID_X_EN: 1
; COMPUTE_PGM_RSRC2:TGID_Y_EN: 0
; COMPUTE_PGM_RSRC2:TGID_Z_EN: 0
; COMPUTE_PGM_RSRC2:TIDIG_COMP_CNT: 0
	.text
	.protected	_Z19generatingTrianglesfPKjPKtPKiPK15HIP_vector_typeIhLj4EEPjS9_PyPfSB_SB_SB_ ; -- Begin function _Z19generatingTrianglesfPKjPKtPKiPK15HIP_vector_typeIhLj4EEPjS9_PyPfSB_SB_SB_
	.globl	_Z19generatingTrianglesfPKjPKtPKiPK15HIP_vector_typeIhLj4EEPjS9_PyPfSB_SB_SB_
	.p2align	8
	.type	_Z19generatingTrianglesfPKjPKtPKiPK15HIP_vector_typeIhLj4EEPjS9_PyPfSB_SB_SB_,@function
_Z19generatingTrianglesfPKjPKtPKiPK15HIP_vector_typeIhLj4EEPjS9_PyPfSB_SB_SB_: ; @_Z19generatingTrianglesfPKjPKtPKiPK15HIP_vector_typeIhLj4EEPjS9_PyPfSB_SB_SB_
; %bb.0:
	s_load_b64 s[4:5], s[0:1], 0x8
	s_mov_b32 s2, s15
	s_mov_b32 s3, 0
	v_bfe_u32 v5, v0, 20, 10
	s_lshl_b64 s[2:3], s[2:3], 2
	v_and_b32_e32 v4, 0x3ff, v0
	v_bfe_u32 v0, v0, 10, 10
	s_delay_alu instid0(VALU_DEP_3)
	v_mul_u32_u24_e32 v9, 0x64, v5
	s_waitcnt lgkmcnt(0)
	s_add_u32 s2, s4, s2
	s_addc_u32 s3, s5, s3
	s_load_b32 s2, s[2:3], 0x0
	s_waitcnt lgkmcnt(0)
	s_mul_hi_u32 s3, s2, 0xc0c0c0c1
	s_mul_hi_u32 s4, s2, 0x9121b243
	s_lshr_b32 s18, s3, 8
	s_lshr_b32 s3, s4, 16
	s_mul_i32 s4, s18, 0x154
	v_mad_u64_u32 v[1:2], null, s3, 7, v[5:6]
	s_sub_i32 s2, s2, s4
	s_delay_alu instid0(SALU_CYCLE_1) | instskip(NEXT) | instid1(VALU_DEP_2)
	v_mad_u64_u32 v[2:3], null, s2, 3, v[4:5]
	v_add_nc_u32_e32 v3, 0xfffffe00, v1
	s_delay_alu instid0(VALU_DEP_1) | instskip(NEXT) | instid1(VALU_DEP_1)
	v_cvt_f32_i32_e32 v3, v3
	v_mul_f32_e32 v13, 0x3b000000, v3
	s_delay_alu instid0(VALU_DEP_4) | instskip(NEXT) | instid1(VALU_DEP_1)
	v_add_nc_u32_e32 v6, 0xfffffe00, v2
	v_cvt_f32_i32_e32 v6, v6
	s_delay_alu instid0(VALU_DEP_1) | instskip(NEXT) | instid1(VALU_DEP_4)
	v_mul_f32_e32 v10, 0x3b000000, v6
	v_mul_f32_e32 v14, v13, v13
	v_mul_u32_u24_e32 v6, 20, v0
	s_delay_alu instid0(VALU_DEP_2) | instskip(NEXT) | instid1(VALU_DEP_1)
	v_fma_f32 v3, v10, v10, v14
	v_fmac_f32_e32 v3, v13, v13
	v_dual_mul_f32 v8, 0x41800000, v10 :: v_dual_lshlrev_b32 v7, 2, v4
	v_cmp_eq_u32_e32 vcc_lo, 3, v4
	s_delay_alu instid0(VALU_DEP_2) | instskip(NEXT) | instid1(VALU_DEP_3)
	v_add3_u32 v12, v9, v6, v7
	v_mul_f32_e32 v11, v13, v8
	s_delay_alu instid0(VALU_DEP_1) | instskip(NEXT) | instid1(VALU_DEP_1)
	v_fma_f32 v11, -v13, v11, 1.0
	v_fmac_f32_e32 v11, -4.0, v3
	v_mov_b32_e32 v3, 7
	ds_store_b32 v12, v11
	s_and_saveexec_b32 s3, vcc_lo
	s_cbranch_execz .LBB4_4
; %bb.1:
	v_add_nc_u32_e32 v3, 0xfffffe01, v2
	s_mov_b32 s4, exec_lo
	s_delay_alu instid0(VALU_DEP_1) | instskip(NEXT) | instid1(VALU_DEP_1)
	v_cvt_f32_i32_e32 v3, v3
	v_mul_f32_e32 v3, 0x3b000000, v3
	s_delay_alu instid0(VALU_DEP_1) | instskip(SKIP_1) | instid1(VALU_DEP_2)
	v_mul_f32_e32 v15, 0xc1800000, v3
	v_fma_f32 v3, v3, v3, v14
	v_mul_f32_e32 v15, v13, v15
	s_delay_alu instid0(VALU_DEP_2) | instskip(NEXT) | instid1(VALU_DEP_2)
	v_add_f32_e32 v14, v14, v3
	v_fma_f32 v3, v13, v15, 1.0
	s_delay_alu instid0(VALU_DEP_1)
	v_fmac_f32_e32 v3, -4.0, v14
	v_mad_u32_u24 v14, 0x64, v5, v6
	ds_store_b32 v14, v3 offset:16
	v_cmpx_eq_u32_e32 3, v0
	s_cbranch_execz .LBB4_3
; %bb.2:
	ds_store_b32 v9, v3 offset:96
.LBB4_3:
	s_or_b32 exec_lo, exec_lo, s4
	v_mov_b32_e32 v3, 6
.LBB4_4:
	s_or_b32 exec_lo, exec_lo, s3
	v_mul_f32_e32 v9, v10, v10
	s_mov_b32 s3, exec_lo
	v_cmpx_eq_u32_e32 3, v0
	s_cbranch_execz .LBB4_8
; %bb.5:
	v_mad_u32_u24 v14, 0x64, v5, v7
	s_mov_b32 s4, exec_lo
	ds_store_b32 v14, v11 offset:80
	v_cmpx_eq_u32_e32 7, v5
	s_cbranch_execz .LBB4_7
; %bb.6:
	v_add_nc_u32_e32 v14, 0xfffffe01, v1
	s_delay_alu instid0(VALU_DEP_1) | instskip(NEXT) | instid1(VALU_DEP_1)
	v_cvt_f32_i32_e32 v14, v14
	v_mul_f32_e32 v14, 0x3b000000, v14
	s_delay_alu instid0(VALU_DEP_1) | instskip(SKIP_1) | instid1(VALU_DEP_2)
	v_mul_f32_e32 v15, v14, v8
	v_fma_f32 v16, v14, v14, v9
	v_fma_f32 v15, -v14, v15, 1.0
	s_delay_alu instid0(VALU_DEP_2) | instskip(NEXT) | instid1(VALU_DEP_1)
	v_fmac_f32_e32 v16, v14, v14
	v_fmac_f32_e32 v15, -4.0, v16
	ds_store_b32 v7, v15 offset:880
.LBB4_7:
	s_or_b32 exec_lo, exec_lo, s4
	v_and_b32_e32 v3, 5, v3
.LBB4_8:
	s_or_b32 exec_lo, exec_lo, s3
	s_delay_alu instid0(SALU_CYCLE_1)
	s_mov_b32 s3, exec_lo
	v_cmpx_eq_u32_e32 7, v5
	s_cbranch_execz .LBB4_12
; %bb.9:
	v_add_nc_u32_e32 v14, 0xfffffe01, v1
	v_mad_u32_u24 v7, v0, 20, v7
	s_delay_alu instid0(VALU_DEP_2) | instskip(NEXT) | instid1(VALU_DEP_1)
	v_cvt_f32_i32_e32 v14, v14
	v_mul_f32_e32 v14, 0x3b000000, v14
	s_delay_alu instid0(VALU_DEP_1) | instskip(SKIP_1) | instid1(VALU_DEP_2)
	v_mul_f32_e32 v8, v14, v8
	v_fmac_f32_e32 v9, v14, v14
	v_fma_f32 v8, -v14, v8, 1.0
	s_delay_alu instid0(VALU_DEP_2) | instskip(NEXT) | instid1(VALU_DEP_1)
	v_fmac_f32_e32 v9, v14, v14
	v_fmac_f32_e32 v8, -4.0, v9
	ds_store_b32 v7, v8 offset:800
	s_and_saveexec_b32 s2, vcc_lo
	s_cbranch_execz .LBB4_11
; %bb.10:
	v_add_nc_u32_e32 v7, 0xfffffe01, v2
	v_mul_f32_e32 v9, v14, v14
	s_delay_alu instid0(VALU_DEP_2) | instskip(NEXT) | instid1(VALU_DEP_1)
	v_cvt_f32_i32_e32 v7, v7
	v_mul_f32_e32 v7, 0x3b000000, v7
	s_delay_alu instid0(VALU_DEP_1) | instskip(NEXT) | instid1(VALU_DEP_4)
	v_mul_f32_e32 v8, 0xc1800000, v7
	v_fma_f32 v7, v7, v7, v9
	s_delay_alu instid0(VALU_DEP_1) | instskip(NEXT) | instid1(VALU_DEP_1)
	v_dual_mul_f32 v8, v14, v8 :: v_dual_add_f32 v7, v9, v7
	v_fma_f32 v8, v14, v8, 1.0
	s_delay_alu instid0(VALU_DEP_1)
	v_fmac_f32_e32 v8, -4.0, v7
	ds_store_b32 v6, v8 offset:816
.LBB4_11:
	s_or_b32 exec_lo, exec_lo, s2
	v_and_b32_e32 v3, 3, v3
.LBB4_12:
	s_or_b32 exec_lo, exec_lo, s3
	s_load_b32 s19, s[0:1], 0x0
	s_waitcnt lgkmcnt(0)
	s_barrier
	buffer_gl0_inv
	ds_load_2addr_b32 v[6:7], v12 offset1:1
	ds_load_2addr_b32 v[8:9], v12 offset0:5 offset1:6
	ds_load_2addr_b32 v[14:15], v12 offset0:25 offset1:26
	ds_load_2addr_b32 v[16:17], v12 offset0:30 offset1:31
	s_waitcnt lgkmcnt(3)
	v_cmp_gt_f32_e32 vcc_lo, s19, v6
	s_waitcnt lgkmcnt(0)
	v_cmp_gt_f32_e64 s3, s19, v16
	v_cndmask_b32_e64 v6, 0, 1, vcc_lo
	v_cmp_gt_f32_e32 vcc_lo, s19, v7
	s_delay_alu instid0(VALU_DEP_2) | instskip(NEXT) | instid1(VALU_DEP_1)
	v_or_b32_e32 v18, 2, v6
	v_cndmask_b32_e32 v6, v6, v18, vcc_lo
	v_cmp_gt_f32_e32 vcc_lo, s19, v9
	s_delay_alu instid0(VALU_DEP_2) | instskip(NEXT) | instid1(VALU_DEP_1)
	v_or_b32_e32 v7, 4, v6
	v_cndmask_b32_e32 v6, v6, v7, vcc_lo
	;; [unrolled: 4-line block ×6, first 2 shown]
	v_cmp_eq_u32_e32 vcc_lo, 0, v3
	s_delay_alu instid0(VALU_DEP_2) | instskip(NEXT) | instid1(VALU_DEP_1)
	v_or_b32_e32 v7, 0x80, v6
	v_cndmask_b32_e64 v6, v6, v7, s3
	v_mov_b32_e32 v7, 0
	s_mov_b32 s3, exec_lo
	v_cmpx_ne_u32_e32 0, v3
	s_cbranch_execz .LBB4_14
; %bb.13:
	s_load_b64 s[4:5], s[0:1], 0x10
	v_mov_b32_e32 v7, 0
	s_delay_alu instid0(VALU_DEP_1) | instskip(SKIP_1) | instid1(VALU_DEP_1)
	v_lshlrev_b64 v[7:8], 1, v[6:7]
	s_waitcnt lgkmcnt(0)
	v_add_co_u32 v7, s2, s4, v7
	s_delay_alu instid0(VALU_DEP_1)
	v_add_co_ci_u32_e64 v8, s2, s5, v8, s2
	global_load_u16 v7, v[7:8], off
.LBB4_14:
	s_or_b32 exec_lo, exec_lo, s3
	v_mbcnt_lo_u32_b32 v8, -1, 0
	v_lshlrev_b32_e32 v14, 13, v3
	s_waitcnt vmcnt(0)
	v_and_b32_e32 v15, 7, v7
	v_lshlrev_b32_e32 v16, 2, v0
	v_add_nc_u32_e32 v9, -1, v8
	v_and_b32_e32 v14, v7, v14
	v_add_nc_u32_e32 v22, -4, v8
	s_delay_alu instid0(VALU_DEP_3) | instskip(NEXT) | instid1(VALU_DEP_3)
	v_cmp_gt_i32_e64 s2, 0, v9
	v_bcnt_u32_b32 v7, v14, 0
	s_delay_alu instid0(VALU_DEP_3) | instskip(NEXT) | instid1(VALU_DEP_3)
	v_cmp_gt_i32_e64 s4, 0, v22
	v_cndmask_b32_e64 v9, v9, v8, s2
	v_cmp_eq_u32_e64 s2, 7, v3
	s_delay_alu instid0(VALU_DEP_3) | instskip(NEXT) | instid1(VALU_DEP_2)
	v_cndmask_b32_e64 v22, v22, v8, s4
	v_cndmask_b32_e64 v3, 0, v15, s2
	s_delay_alu instid0(VALU_DEP_4) | instskip(SKIP_1) | instid1(VALU_DEP_4)
	v_lshlrev_b32_e32 v15, 2, v9
	v_lshlrev_b32_e32 v9, 4, v5
	;; [unrolled: 1-line block ×3, first 2 shown]
	ds_bpermute_b32 v19, v15, v3
	ds_bpermute_b32 v20, v15, v7
	v_add3_u32 v18, v16, v4, v9
	v_add_nc_u32_e32 v9, -2, v8
	s_delay_alu instid0(VALU_DEP_2) | instskip(NEXT) | instid1(VALU_DEP_2)
	v_and_b32_e32 v17, 31, v18
	v_cmp_gt_i32_e64 s3, 0, v9
	s_delay_alu instid0(VALU_DEP_2) | instskip(NEXT) | instid1(VALU_DEP_2)
	v_cmp_eq_u32_e64 s2, 0, v17
	v_cndmask_b32_e64 v9, v9, v8, s3
	v_cmp_gt_u32_e64 s3, 2, v17
	v_cmp_gt_u32_e64 s4, 4, v17
	s_delay_alu instid0(VALU_DEP_3) | instskip(SKIP_4) | instid1(VALU_DEP_2)
	v_lshlrev_b32_e32 v16, 2, v9
	s_waitcnt lgkmcnt(1)
	v_cndmask_b32_e64 v19, v19, 0, s2
	s_waitcnt lgkmcnt(0)
	v_cndmask_b32_e64 v20, v20, 0, s2
	v_add_nc_u32_e32 v9, v19, v3
	s_delay_alu instid0(VALU_DEP_2)
	v_bcnt_u32_b32 v19, v14, v20
	ds_bpermute_b32 v20, v16, v9
	ds_bpermute_b32 v21, v16, v19
	s_waitcnt lgkmcnt(1)
	v_cndmask_b32_e64 v20, v20, 0, s3
	s_waitcnt lgkmcnt(0)
	v_cndmask_b32_e64 v21, v21, 0, s3
	s_delay_alu instid0(VALU_DEP_2) | instskip(NEXT) | instid1(VALU_DEP_2)
	v_add_nc_u32_e32 v9, v20, v9
	v_add_nc_u32_e32 v19, v21, v19
	ds_bpermute_b32 v20, v22, v9
	ds_bpermute_b32 v21, v22, v19
	v_add_nc_u32_e32 v22, -8, v8
	s_delay_alu instid0(VALU_DEP_1) | instskip(NEXT) | instid1(VALU_DEP_1)
	v_cmp_gt_i32_e64 s5, 0, v22
	v_cndmask_b32_e64 v22, v22, v8, s5
	s_delay_alu instid0(VALU_DEP_1)
	v_lshlrev_b32_e32 v22, 2, v22
	s_waitcnt lgkmcnt(1)
	v_cndmask_b32_e64 v20, v20, 0, s4
	s_waitcnt lgkmcnt(0)
	v_cndmask_b32_e64 v21, v21, 0, s4
	v_cmp_gt_u32_e64 s4, 8, v17
	s_delay_alu instid0(VALU_DEP_3) | instskip(NEXT) | instid1(VALU_DEP_3)
	v_add_nc_u32_e32 v9, v20, v9
	v_add_nc_u32_e32 v19, v21, v19
	ds_bpermute_b32 v20, v22, v9
	ds_bpermute_b32 v21, v22, v19
	v_add_nc_u32_e32 v22, -16, v8
	s_delay_alu instid0(VALU_DEP_1) | instskip(NEXT) | instid1(VALU_DEP_1)
	v_cmp_gt_i32_e64 s5, 0, v22
	v_cndmask_b32_e64 v8, v22, v8, s5
	s_mov_b32 s5, exec_lo
	s_delay_alu instid0(VALU_DEP_1)
	v_lshlrev_b32_e32 v8, 2, v8
	s_waitcnt lgkmcnt(1)
	v_cndmask_b32_e64 v20, v20, 0, s4
	s_waitcnt lgkmcnt(0)
	v_cndmask_b32_e64 v21, v21, 0, s4
	v_cmp_gt_u32_e64 s4, 16, v17
	s_delay_alu instid0(VALU_DEP_3) | instskip(NEXT) | instid1(VALU_DEP_3)
	v_add_nc_u32_e32 v9, v20, v9
	v_add_nc_u32_e32 v19, v21, v19
	v_lshrrev_b32_e32 v21, 5, v18
	ds_bpermute_b32 v20, v8, v9
	ds_bpermute_b32 v8, v8, v19
	s_waitcnt lgkmcnt(1)
	v_cndmask_b32_e64 v20, v20, 0, s4
	s_waitcnt lgkmcnt(0)
	v_cndmask_b32_e64 v8, v8, 0, s4
	s_delay_alu instid0(VALU_DEP_2) | instskip(NEXT) | instid1(VALU_DEP_2)
	v_add_nc_u32_e32 v9, v20, v9
	v_add_nc_u32_e32 v8, v8, v19
	v_lshlrev_b32_e32 v19, 2, v21
	v_cmpx_eq_u32_e32 31, v17
	s_cbranch_execz .LBB4_16
; %bb.15:
	s_delay_alu instid0(VALU_DEP_2)
	v_add_nc_u32_e32 v20, 0x400, v19
	ds_store_2addr_b32 v20, v8, v9 offset0:36 offset1:68
.LBB4_16:
	s_or_b32 exec_lo, exec_lo, s5
	v_cmp_lt_u32_e64 s4, 31, v18
	s_mov_b32 s6, exec_lo
	s_waitcnt lgkmcnt(0)
	s_barrier
	buffer_gl0_inv
	v_cmpx_gt_u32_e32 32, v18
	s_cbranch_execz .LBB4_18
; %bb.17:
	v_lshlrev_b32_e32 v17, 2, v17
	s_delay_alu instid0(VALU_DEP_1)
	v_add_nc_u32_e32 v20, 0x400, v17
	ds_load_2addr_b32 v[17:18], v20 offset0:36 offset1:68
	s_waitcnt lgkmcnt(0)
	ds_bpermute_b32 v21, v15, v18
	ds_bpermute_b32 v15, v15, v17
	s_waitcnt lgkmcnt(1)
	v_cndmask_b32_e64 v21, v21, 0, s2
	s_waitcnt lgkmcnt(0)
	v_cndmask_b32_e64 v15, v15, 0, s2
	s_delay_alu instid0(VALU_DEP_2) | instskip(NEXT) | instid1(VALU_DEP_2)
	v_add_nc_u32_e32 v18, v21, v18
	v_add_nc_u32_e32 v15, v15, v17
	ds_bpermute_b32 v17, v16, v18
	ds_bpermute_b32 v16, v16, v15
	s_waitcnt lgkmcnt(1)
	v_cndmask_b32_e64 v17, v17, 0, s3
	s_waitcnt lgkmcnt(0)
	v_cndmask_b32_e64 v16, v16, 0, s3
	s_delay_alu instid0(VALU_DEP_2) | instskip(NEXT) | instid1(VALU_DEP_2)
	v_add_nc_u32_e32 v17, v17, v18
	v_add_nc_u32_e32 v15, v16, v15
	ds_store_2addr_b32 v20, v15, v17 offset0:36 offset1:68
.LBB4_18:
	s_or_b32 exec_lo, exec_lo, s6
	s_waitcnt lgkmcnt(0)
	s_barrier
	buffer_gl0_inv
	s_and_saveexec_b32 s2, s4
	s_cbranch_execz .LBB4_20
; %bb.19:
	v_add_nc_u32_e32 v15, 0x400, v19
	ds_load_2addr_b32 v[15:16], v15 offset0:35 offset1:67
	s_waitcnt lgkmcnt(0)
	v_add_nc_u32_e32 v8, v15, v8
	v_add_nc_u32_e32 v9, v16, v9
.LBB4_20:
	s_or_b32 exec_lo, exec_lo, s2
	s_clause 0x2
	s_load_b64 s[16:17], s[0:1], 0x58
	s_load_b256 s[4:11], s[0:1], 0x38
	s_load_b128 s[12:15], s[0:1], 0x18
	s_and_saveexec_b32 s20, vcc_lo
	s_cbranch_execz .LBB4_30
; %bb.21:
	s_load_b128 s[0:3], s[0:1], 0x28
	s_mov_b32 s21, exec_lo
	s_mov_b32 s22, 0
                                        ; implicit-def: $vgpr15
.LBB4_22:                               ; =>This Inner Loop Header: Depth=1
	s_ctz_i32_b32 s23, s21
	s_delay_alu instid0(SALU_CYCLE_1) | instskip(SKIP_3) | instid1(VALU_DEP_2)
	v_readlane_b32 s24, v8, s23
	s_lshl_b32 s25, 1, s23
	v_writelane_b32 v15, s22, s23
	s_and_not1_b32 s21, s21, s25
	s_add_i32 s22, s22, s24
	s_cmp_lg_u32 s21, 0
	s_cbranch_scc1 .LBB4_22
; %bb.23:
	v_mbcnt_lo_u32_b32 v16, exec_lo, 0
	s_mov_b32 s21, 0
	s_delay_alu instid0(VALU_DEP_1) | instskip(SKIP_1) | instid1(SALU_CYCLE_1)
	v_cmp_eq_u32_e32 vcc_lo, 0, v16
                                        ; implicit-def: $vgpr16
	s_and_saveexec_b32 s23, vcc_lo
	s_xor_b32 s23, exec_lo, s23
	s_cbranch_execz .LBB4_25
; %bb.24:
	v_dual_mov_b32 v16, 0 :: v_dual_mov_b32 v17, s22
	s_waitcnt lgkmcnt(0)
	global_atomic_add_u32 v16, v16, v17, s[0:1] glc
.LBB4_25:
	s_or_b32 exec_lo, exec_lo, s23
	s_waitcnt vmcnt(0) lgkmcnt(0)
	v_readfirstlane_b32 s1, v16
	s_mov_b32 s0, exec_lo
	s_delay_alu instid0(VALU_DEP_1)
	v_dual_mov_b32 v16, 0 :: v_dual_add_nc_u32 v15, s1, v15
	ds_store_b32 v16, v15 offset:1292
                                        ; implicit-def: $vgpr15
.LBB4_26:                               ; =>This Inner Loop Header: Depth=1
	s_ctz_i32_b32 s1, s0
	s_delay_alu instid0(SALU_CYCLE_1) | instskip(SKIP_3) | instid1(VALU_DEP_2)
	v_readlane_b32 s22, v9, s1
	s_lshl_b32 s23, 1, s1
	v_writelane_b32 v15, s21, s1
	s_and_not1_b32 s0, s0, s23
	s_add_i32 s21, s21, s22
	s_cmp_lg_u32 s0, 0
	s_cbranch_scc1 .LBB4_26
; %bb.27:
	v_mbcnt_lo_u32_b32 v9, exec_lo, 0
	s_delay_alu instid0(VALU_DEP_1) | instskip(SKIP_1) | instid1(SALU_CYCLE_1)
	v_cmp_eq_u32_e32 vcc_lo, 0, v9
                                        ; implicit-def: $vgpr9
	s_and_saveexec_b32 s0, vcc_lo
	s_xor_b32 s0, exec_lo, s0
	s_cbranch_execz .LBB4_29
; %bb.28:
	v_dual_mov_b32 v9, 0 :: v_dual_mov_b32 v16, s21
	global_atomic_add_u32 v9, v9, v16, s[2:3] glc
.LBB4_29:
	s_or_b32 exec_lo, exec_lo, s0
	s_waitcnt vmcnt(0)
	v_readfirstlane_b32 s0, v9
	s_delay_alu instid0(VALU_DEP_1)
	v_add_nc_u32_e32 v9, s0, v15
	v_mov_b32_e32 v15, 0
	ds_store_b32 v15, v9 offset:1420
.LBB4_30:
	s_or_b32 exec_lo, exec_lo, s20
	v_sub_nc_u32_e32 v7, v8, v7
	v_lshlrev_b32_e32 v8, 1, v4
	v_lshlrev_b32_e32 v9, 3, v0
	;; [unrolled: 1-line block ×3, first 2 shown]
	s_mov_b32 s2, exec_lo
	v_or_b32_e32 v7, v7, v14
	s_delay_alu instid0(VALU_DEP_2)
	v_add3_u32 v8, v15, v9, v8
	ds_store_b16 v8, v7 offset:912
	s_waitcnt lgkmcnt(0)
	s_barrier
	buffer_gl0_inv
	v_cmpx_ne_u32_e32 0, v3
	s_cbranch_execz .LBB4_72
; %bb.31:
	v_dual_mov_b32 v7, 0 :: v_dual_lshlrev_b32 v16, 4, v6
	s_mov_b32 s3, exec_lo
	ds_load_b32 v15, v7 offset:1292
	v_cmpx_ne_u32_e32 1, v3
	s_cbranch_execz .LBB4_59
; %bb.32:
	s_add_u32 s20, s12, 12
	s_addc_u32 s21, s13, 0
	v_and_b32_e32 v17, -2, v3
	v_mov_b32_e32 v7, 0
	s_add_u32 s22, s12, 16
	s_addc_u32 s23, s13, 0
	s_add_u32 s24, s12, 20
	s_addc_u32 s26, s13, 0
	s_mov_b32 s25, 0
	s_mov_b32 s27, 0
	s_branch .LBB4_34
.LBB4_33:                               ;   in Loop: Header=BB4_34 Depth=1
	s_or_b32 exec_lo, exec_lo, s28
	s_add_i32 s27, s27, 2
	s_delay_alu instid0(SALU_CYCLE_1) | instskip(SKIP_1) | instid1(SALU_CYCLE_1)
	v_cmp_eq_u32_e32 vcc_lo, s27, v17
	s_or_b32 s25, vcc_lo, s25
	s_and_not1_b32 exec_lo, exec_lo, s25
	s_cbranch_execz .LBB4_58
.LBB4_34:                               ; =>This Loop Header: Depth=1
                                        ;     Child Loop BB4_35 Depth 2
                                        ;     Child Loop BB4_39 Depth 2
	;; [unrolled: 1-line block ×6, first 2 shown]
	s_mul_i32 s28, s27, 3
	s_mov_b32 s29, exec_lo
	v_add_nc_u32_e32 v6, s28, v16
	s_mov_b64 s[0:1], 0
	s_delay_alu instid0(VALU_DEP_1) | instskip(NEXT) | instid1(VALU_DEP_1)
	v_lshlrev_b64 v[8:9], 2, v[6:7]
	v_add_co_u32 v8, vcc_lo, s12, v8
	s_delay_alu instid0(VALU_DEP_2) | instskip(SKIP_3) | instid1(VALU_DEP_1)
	v_add_co_ci_u32_e32 v9, vcc_lo, s13, v9, vcc_lo
	global_load_b32 v18, v[8:9], off
	s_waitcnt vmcnt(0)
	v_ashrrev_i32_e32 v19, 31, v18
	v_lshlrev_b64 v[18:19], 2, v[18:19]
	s_delay_alu instid0(VALU_DEP_1) | instskip(NEXT) | instid1(VALU_DEP_2)
	v_add_co_u32 v18, vcc_lo, s14, v18
	v_add_co_ci_u32_e32 v19, vcc_lo, s15, v19, vcc_lo
	global_load_b32 v6, v[18:19], off
	s_waitcnt vmcnt(0)
	v_and_b32_e32 v18, 0xff, v6
	v_bfe_u32 v19, v6, 8, 8
	v_bfe_u32 v20, v6, 16, 8
	v_lshrrev_b32_e32 v6, 24, v6
	s_delay_alu instid0(VALU_DEP_4) | instskip(NEXT) | instid1(VALU_DEP_4)
	v_add_lshl_u32 v18, v4, v18, 1
	v_add_lshl_u32 v19, v0, v19, 3
	s_delay_alu instid0(VALU_DEP_4) | instskip(NEXT) | instid1(VALU_DEP_4)
	v_add_lshl_u32 v20, v5, v20, 5
	v_sub_nc_u32_e32 v6, 16, v6
	s_delay_alu instid0(VALU_DEP_2) | instskip(SKIP_4) | instid1(VALU_DEP_2)
	v_add3_u32 v18, v20, v19, v18
	ds_load_u16 v18, v18 offset:912
	s_waitcnt lgkmcnt(0)
	v_lshrrev_b32_e32 v6, v6, v18
	v_and_b32_e32 v18, 0x1fff, v18
	v_bcnt_u32_b32 v6, v6, 0
	s_delay_alu instid0(VALU_DEP_1)
	v_add3_u32 v6, v18, v15, v6
.LBB4_35:                               ;   Parent Loop BB4_34 Depth=1
                                        ; =>  This Inner Loop Header: Depth=2
	s_ctz_i32_b32 s30, s29
	s_delay_alu instid0(VALU_DEP_1) | instid1(SALU_CYCLE_1)
	v_readlane_b32 s31, v6, s30
	v_readlane_b32 s33, v7, s30
	s_delay_alu instid0(VALU_DEP_2) | instskip(NEXT) | instid1(VALU_DEP_1)
	s_add_u32 s0, s0, s31
	s_addc_u32 s1, s1, s33
	s_lshl_b32 s30, 1, s30
	s_delay_alu instid0(SALU_CYCLE_1) | instskip(NEXT) | instid1(SALU_CYCLE_1)
	s_and_not1_b32 s29, s29, s30
	s_cmp_lg_u32 s29, 0
	s_cbranch_scc1 .LBB4_35
; %bb.36:                               ;   in Loop: Header=BB4_34 Depth=1
	v_mbcnt_lo_u32_b32 v6, exec_lo, 0
	s_mov_b32 s29, exec_lo
	s_delay_alu instid0(VALU_DEP_1)
	v_cmpx_eq_u32_e32 0, v6
	s_xor_b32 s29, exec_lo, s29
	s_cbranch_execz .LBB4_38
; %bb.37:                               ;   in Loop: Header=BB4_34 Depth=1
	v_dual_mov_b32 v19, s1 :: v_dual_mov_b32 v18, s0
	global_atomic_add_u64 v7, v[18:19], s[4:5]
.LBB4_38:                               ;   in Loop: Header=BB4_34 Depth=1
	s_or_b32 exec_lo, exec_lo, s29
	global_load_b32 v18, v[8:9], off offset:4
	s_mov_b32 s29, exec_lo
	s_mov_b64 s[0:1], 0
	s_waitcnt vmcnt(0)
	v_ashrrev_i32_e32 v19, 31, v18
	s_delay_alu instid0(VALU_DEP_1) | instskip(NEXT) | instid1(VALU_DEP_1)
	v_lshlrev_b64 v[18:19], 2, v[18:19]
	v_add_co_u32 v18, vcc_lo, s14, v18
	s_delay_alu instid0(VALU_DEP_2)
	v_add_co_ci_u32_e32 v19, vcc_lo, s15, v19, vcc_lo
	global_load_b32 v6, v[18:19], off
	s_waitcnt vmcnt(0)
	v_and_b32_e32 v18, 0xff, v6
	v_bfe_u32 v19, v6, 8, 8
	v_bfe_u32 v20, v6, 16, 8
	v_lshrrev_b32_e32 v6, 24, v6
	s_delay_alu instid0(VALU_DEP_4) | instskip(NEXT) | instid1(VALU_DEP_4)
	v_add_lshl_u32 v18, v4, v18, 1
	v_add_lshl_u32 v19, v0, v19, 3
	s_delay_alu instid0(VALU_DEP_4) | instskip(NEXT) | instid1(VALU_DEP_4)
	v_add_lshl_u32 v20, v5, v20, 5
	v_sub_nc_u32_e32 v6, 16, v6
	s_delay_alu instid0(VALU_DEP_2) | instskip(SKIP_4) | instid1(VALU_DEP_2)
	v_add3_u32 v18, v20, v19, v18
	ds_load_u16 v18, v18 offset:912
	s_waitcnt lgkmcnt(0)
	v_lshrrev_b32_e32 v6, v6, v18
	v_and_b32_e32 v18, 0x1fff, v18
	v_bcnt_u32_b32 v6, v6, 0
	s_delay_alu instid0(VALU_DEP_1)
	v_add3_u32 v6, v18, v15, v6
.LBB4_39:                               ;   Parent Loop BB4_34 Depth=1
                                        ; =>  This Inner Loop Header: Depth=2
	s_ctz_i32_b32 s30, s29
	s_delay_alu instid0(VALU_DEP_1) | instid1(SALU_CYCLE_1)
	v_readlane_b32 s31, v6, s30
	v_readlane_b32 s33, v7, s30
	s_delay_alu instid0(VALU_DEP_2) | instskip(NEXT) | instid1(VALU_DEP_1)
	s_add_u32 s0, s0, s31
	s_addc_u32 s1, s1, s33
	s_lshl_b32 s30, 1, s30
	s_delay_alu instid0(SALU_CYCLE_1) | instskip(NEXT) | instid1(SALU_CYCLE_1)
	s_and_not1_b32 s29, s29, s30
	s_cmp_lg_u32 s29, 0
	s_cbranch_scc1 .LBB4_39
; %bb.40:                               ;   in Loop: Header=BB4_34 Depth=1
	v_mbcnt_lo_u32_b32 v6, exec_lo, 0
	s_mov_b32 s29, exec_lo
	s_delay_alu instid0(VALU_DEP_1)
	v_cmpx_eq_u32_e32 0, v6
	s_xor_b32 s29, exec_lo, s29
	s_cbranch_execz .LBB4_42
; %bb.41:                               ;   in Loop: Header=BB4_34 Depth=1
	v_dual_mov_b32 v19, s1 :: v_dual_mov_b32 v18, s0
	global_atomic_add_u64 v7, v[18:19], s[4:5]
.LBB4_42:                               ;   in Loop: Header=BB4_34 Depth=1
	s_or_b32 exec_lo, exec_lo, s29
	global_load_b32 v8, v[8:9], off offset:8
	s_mov_b32 s29, exec_lo
	s_mov_b64 s[0:1], 0
	s_waitcnt vmcnt(0)
	v_ashrrev_i32_e32 v9, 31, v8
	s_delay_alu instid0(VALU_DEP_1) | instskip(NEXT) | instid1(VALU_DEP_1)
	v_lshlrev_b64 v[8:9], 2, v[8:9]
	v_add_co_u32 v8, vcc_lo, s14, v8
	s_delay_alu instid0(VALU_DEP_2)
	v_add_co_ci_u32_e32 v9, vcc_lo, s15, v9, vcc_lo
	global_load_b32 v6, v[8:9], off
	s_waitcnt vmcnt(0)
	v_and_b32_e32 v8, 0xff, v6
	v_bfe_u32 v9, v6, 8, 8
	v_bfe_u32 v18, v6, 16, 8
	v_lshrrev_b32_e32 v6, 24, v6
	s_delay_alu instid0(VALU_DEP_4) | instskip(NEXT) | instid1(VALU_DEP_4)
	v_add_lshl_u32 v8, v4, v8, 1
	v_add_lshl_u32 v9, v0, v9, 3
	s_delay_alu instid0(VALU_DEP_4) | instskip(NEXT) | instid1(VALU_DEP_4)
	v_add_lshl_u32 v18, v5, v18, 5
	v_sub_nc_u32_e32 v6, 16, v6
	s_delay_alu instid0(VALU_DEP_2) | instskip(SKIP_4) | instid1(VALU_DEP_2)
	v_add3_u32 v8, v18, v9, v8
	ds_load_u16 v8, v8 offset:912
	s_waitcnt lgkmcnt(0)
	v_lshrrev_b32_e32 v6, v6, v8
	v_and_b32_e32 v8, 0x1fff, v8
	v_bcnt_u32_b32 v6, v6, 0
	s_delay_alu instid0(VALU_DEP_1)
	v_add3_u32 v6, v8, v15, v6
.LBB4_43:                               ;   Parent Loop BB4_34 Depth=1
                                        ; =>  This Inner Loop Header: Depth=2
	s_ctz_i32_b32 s30, s29
	s_delay_alu instid0(VALU_DEP_1) | instid1(SALU_CYCLE_1)
	v_readlane_b32 s31, v6, s30
	v_readlane_b32 s33, v7, s30
	s_delay_alu instid0(VALU_DEP_2) | instskip(NEXT) | instid1(VALU_DEP_1)
	s_add_u32 s0, s0, s31
	s_addc_u32 s1, s1, s33
	s_lshl_b32 s30, 1, s30
	s_delay_alu instid0(SALU_CYCLE_1) | instskip(NEXT) | instid1(SALU_CYCLE_1)
	s_and_not1_b32 s29, s29, s30
	s_cmp_lg_u32 s29, 0
	s_cbranch_scc1 .LBB4_43
; %bb.44:                               ;   in Loop: Header=BB4_34 Depth=1
	v_mbcnt_lo_u32_b32 v6, exec_lo, 0
	s_mov_b32 s29, exec_lo
	s_delay_alu instid0(VALU_DEP_1)
	v_cmpx_eq_u32_e32 0, v6
	s_xor_b32 s29, exec_lo, s29
	s_cbranch_execz .LBB4_46
; %bb.45:                               ;   in Loop: Header=BB4_34 Depth=1
	v_dual_mov_b32 v9, s1 :: v_dual_mov_b32 v8, s0
	global_atomic_add_u64 v7, v[8:9], s[4:5]
.LBB4_46:                               ;   in Loop: Header=BB4_34 Depth=1
	s_or_b32 exec_lo, exec_lo, s29
	v_add_co_u32 v8, s0, s28, v16
	s_delay_alu instid0(VALU_DEP_1) | instskip(SKIP_2) | instid1(VALU_DEP_1)
	v_add_co_ci_u32_e64 v9, null, 0, 0, s0
	s_mov_b32 s29, exec_lo
	s_mov_b64 s[0:1], 0
	v_lshlrev_b64 v[8:9], 2, v[8:9]
	s_delay_alu instid0(VALU_DEP_1) | instskip(NEXT) | instid1(VALU_DEP_2)
	v_add_co_u32 v18, vcc_lo, s20, v8
	v_add_co_ci_u32_e32 v19, vcc_lo, s21, v9, vcc_lo
	global_load_b32 v18, v[18:19], off
	s_waitcnt vmcnt(0)
	v_ashrrev_i32_e32 v19, 31, v18
	s_delay_alu instid0(VALU_DEP_1) | instskip(NEXT) | instid1(VALU_DEP_1)
	v_lshlrev_b64 v[18:19], 2, v[18:19]
	v_add_co_u32 v18, vcc_lo, s14, v18
	s_delay_alu instid0(VALU_DEP_2)
	v_add_co_ci_u32_e32 v19, vcc_lo, s15, v19, vcc_lo
	global_load_b32 v6, v[18:19], off
	s_waitcnt vmcnt(0)
	v_and_b32_e32 v18, 0xff, v6
	v_bfe_u32 v19, v6, 8, 8
	v_bfe_u32 v20, v6, 16, 8
	v_lshrrev_b32_e32 v6, 24, v6
	s_delay_alu instid0(VALU_DEP_4) | instskip(NEXT) | instid1(VALU_DEP_4)
	v_add_lshl_u32 v18, v4, v18, 1
	v_add_lshl_u32 v19, v0, v19, 3
	s_delay_alu instid0(VALU_DEP_4) | instskip(NEXT) | instid1(VALU_DEP_4)
	v_add_lshl_u32 v20, v5, v20, 5
	v_sub_nc_u32_e32 v6, 16, v6
	s_delay_alu instid0(VALU_DEP_2) | instskip(SKIP_4) | instid1(VALU_DEP_2)
	v_add3_u32 v18, v20, v19, v18
	ds_load_u16 v18, v18 offset:912
	s_waitcnt lgkmcnt(0)
	v_lshrrev_b32_e32 v6, v6, v18
	v_and_b32_e32 v18, 0x1fff, v18
	v_bcnt_u32_b32 v6, v6, 0
	s_delay_alu instid0(VALU_DEP_1)
	v_add3_u32 v6, v18, v15, v6
.LBB4_47:                               ;   Parent Loop BB4_34 Depth=1
                                        ; =>  This Inner Loop Header: Depth=2
	s_ctz_i32_b32 s28, s29
	s_delay_alu instid0(VALU_DEP_1) | instid1(SALU_CYCLE_1)
	v_readlane_b32 s30, v6, s28
	v_readlane_b32 s31, v7, s28
	s_delay_alu instid0(VALU_DEP_2) | instskip(NEXT) | instid1(VALU_DEP_1)
	s_add_u32 s0, s0, s30
	s_addc_u32 s1, s1, s31
	s_lshl_b32 s28, 1, s28
	s_delay_alu instid0(SALU_CYCLE_1) | instskip(NEXT) | instid1(SALU_CYCLE_1)
	s_and_not1_b32 s29, s29, s28
	s_cmp_lg_u32 s29, 0
	s_cbranch_scc1 .LBB4_47
; %bb.48:                               ;   in Loop: Header=BB4_34 Depth=1
	v_mbcnt_lo_u32_b32 v6, exec_lo, 0
	s_mov_b32 s28, exec_lo
	s_delay_alu instid0(VALU_DEP_1)
	v_cmpx_eq_u32_e32 0, v6
	s_xor_b32 s28, exec_lo, s28
	s_cbranch_execz .LBB4_50
; %bb.49:                               ;   in Loop: Header=BB4_34 Depth=1
	v_dual_mov_b32 v19, s1 :: v_dual_mov_b32 v18, s0
	global_atomic_add_u64 v7, v[18:19], s[4:5]
.LBB4_50:                               ;   in Loop: Header=BB4_34 Depth=1
	s_or_b32 exec_lo, exec_lo, s28
	v_add_co_u32 v18, vcc_lo, s22, v8
	v_add_co_ci_u32_e32 v19, vcc_lo, s23, v9, vcc_lo
	s_mov_b32 s28, exec_lo
	s_mov_b64 s[0:1], 0
	global_load_b32 v18, v[18:19], off
	s_waitcnt vmcnt(0)
	v_ashrrev_i32_e32 v19, 31, v18
	s_delay_alu instid0(VALU_DEP_1) | instskip(NEXT) | instid1(VALU_DEP_1)
	v_lshlrev_b64 v[18:19], 2, v[18:19]
	v_add_co_u32 v18, vcc_lo, s14, v18
	s_delay_alu instid0(VALU_DEP_2)
	v_add_co_ci_u32_e32 v19, vcc_lo, s15, v19, vcc_lo
	global_load_b32 v6, v[18:19], off
	s_waitcnt vmcnt(0)
	v_and_b32_e32 v18, 0xff, v6
	v_bfe_u32 v19, v6, 8, 8
	v_bfe_u32 v20, v6, 16, 8
	v_lshrrev_b32_e32 v6, 24, v6
	s_delay_alu instid0(VALU_DEP_4) | instskip(NEXT) | instid1(VALU_DEP_4)
	v_add_lshl_u32 v18, v4, v18, 1
	v_add_lshl_u32 v19, v0, v19, 3
	s_delay_alu instid0(VALU_DEP_4) | instskip(NEXT) | instid1(VALU_DEP_4)
	v_add_lshl_u32 v20, v5, v20, 5
	v_sub_nc_u32_e32 v6, 16, v6
	s_delay_alu instid0(VALU_DEP_2) | instskip(SKIP_4) | instid1(VALU_DEP_2)
	v_add3_u32 v18, v20, v19, v18
	ds_load_u16 v18, v18 offset:912
	s_waitcnt lgkmcnt(0)
	v_lshrrev_b32_e32 v6, v6, v18
	v_and_b32_e32 v18, 0x1fff, v18
	v_bcnt_u32_b32 v6, v6, 0
	s_delay_alu instid0(VALU_DEP_1)
	v_add3_u32 v6, v18, v15, v6
.LBB4_51:                               ;   Parent Loop BB4_34 Depth=1
                                        ; =>  This Inner Loop Header: Depth=2
	s_ctz_i32_b32 s29, s28
	s_delay_alu instid0(VALU_DEP_1) | instid1(SALU_CYCLE_1)
	v_readlane_b32 s30, v6, s29
	v_readlane_b32 s31, v7, s29
	s_delay_alu instid0(VALU_DEP_2) | instskip(NEXT) | instid1(VALU_DEP_1)
	s_add_u32 s0, s0, s30
	s_addc_u32 s1, s1, s31
	s_lshl_b32 s29, 1, s29
	s_delay_alu instid0(SALU_CYCLE_1) | instskip(NEXT) | instid1(SALU_CYCLE_1)
	s_and_not1_b32 s28, s28, s29
	s_cmp_lg_u32 s28, 0
	s_cbranch_scc1 .LBB4_51
; %bb.52:                               ;   in Loop: Header=BB4_34 Depth=1
	v_mbcnt_lo_u32_b32 v6, exec_lo, 0
	s_mov_b32 s28, exec_lo
	s_delay_alu instid0(VALU_DEP_1)
	v_cmpx_eq_u32_e32 0, v6
	s_xor_b32 s28, exec_lo, s28
	s_cbranch_execz .LBB4_54
; %bb.53:                               ;   in Loop: Header=BB4_34 Depth=1
	v_dual_mov_b32 v19, s1 :: v_dual_mov_b32 v18, s0
	global_atomic_add_u64 v7, v[18:19], s[4:5]
.LBB4_54:                               ;   in Loop: Header=BB4_34 Depth=1
	s_or_b32 exec_lo, exec_lo, s28
	v_add_co_u32 v8, vcc_lo, s24, v8
	v_add_co_ci_u32_e32 v9, vcc_lo, s26, v9, vcc_lo
	s_mov_b32 s28, exec_lo
	s_mov_b64 s[0:1], 0
	global_load_b32 v8, v[8:9], off
	s_waitcnt vmcnt(0)
	v_ashrrev_i32_e32 v9, 31, v8
	s_delay_alu instid0(VALU_DEP_1) | instskip(NEXT) | instid1(VALU_DEP_1)
	v_lshlrev_b64 v[8:9], 2, v[8:9]
	v_add_co_u32 v8, vcc_lo, s14, v8
	s_delay_alu instid0(VALU_DEP_2)
	v_add_co_ci_u32_e32 v9, vcc_lo, s15, v9, vcc_lo
	global_load_b32 v6, v[8:9], off
	s_waitcnt vmcnt(0)
	v_and_b32_e32 v8, 0xff, v6
	v_bfe_u32 v9, v6, 8, 8
	v_bfe_u32 v18, v6, 16, 8
	v_lshrrev_b32_e32 v6, 24, v6
	s_delay_alu instid0(VALU_DEP_4) | instskip(NEXT) | instid1(VALU_DEP_4)
	v_add_lshl_u32 v8, v4, v8, 1
	v_add_lshl_u32 v9, v0, v9, 3
	s_delay_alu instid0(VALU_DEP_4) | instskip(NEXT) | instid1(VALU_DEP_4)
	v_add_lshl_u32 v18, v5, v18, 5
	v_sub_nc_u32_e32 v6, 16, v6
	s_delay_alu instid0(VALU_DEP_2) | instskip(SKIP_4) | instid1(VALU_DEP_2)
	v_add3_u32 v8, v18, v9, v8
	ds_load_u16 v8, v8 offset:912
	s_waitcnt lgkmcnt(0)
	v_lshrrev_b32_e32 v6, v6, v8
	v_and_b32_e32 v8, 0x1fff, v8
	v_bcnt_u32_b32 v6, v6, 0
	s_delay_alu instid0(VALU_DEP_1)
	v_add3_u32 v6, v8, v15, v6
.LBB4_55:                               ;   Parent Loop BB4_34 Depth=1
                                        ; =>  This Inner Loop Header: Depth=2
	s_ctz_i32_b32 s29, s28
	s_delay_alu instid0(VALU_DEP_1) | instid1(SALU_CYCLE_1)
	v_readlane_b32 s30, v6, s29
	v_readlane_b32 s31, v7, s29
	s_delay_alu instid0(VALU_DEP_2) | instskip(NEXT) | instid1(VALU_DEP_1)
	s_add_u32 s0, s0, s30
	s_addc_u32 s1, s1, s31
	s_lshl_b32 s29, 1, s29
	s_delay_alu instid0(SALU_CYCLE_1) | instskip(NEXT) | instid1(SALU_CYCLE_1)
	s_and_not1_b32 s28, s28, s29
	s_cmp_lg_u32 s28, 0
	s_cbranch_scc1 .LBB4_55
; %bb.56:                               ;   in Loop: Header=BB4_34 Depth=1
	v_mbcnt_lo_u32_b32 v6, exec_lo, 0
	s_mov_b32 s28, exec_lo
	s_delay_alu instid0(VALU_DEP_1)
	v_cmpx_eq_u32_e32 0, v6
	s_xor_b32 s28, exec_lo, s28
	s_cbranch_execz .LBB4_33
; %bb.57:                               ;   in Loop: Header=BB4_34 Depth=1
	v_dual_mov_b32 v9, s1 :: v_dual_mov_b32 v8, s0
	global_atomic_add_u64 v7, v[8:9], s[4:5]
	s_branch .LBB4_33
.LBB4_58:
	s_or_b32 exec_lo, exec_lo, s25
	v_lshl_add_u32 v7, v17, 1, v17
.LBB4_59:
	s_or_b32 exec_lo, exec_lo, s3
	v_and_b32_e32 v3, 1, v3
	s_delay_alu instid0(VALU_DEP_1)
	v_cmp_eq_u32_e32 vcc_lo, 1, v3
	s_and_b32 exec_lo, exec_lo, vcc_lo
	s_cbranch_execz .LBB4_72
; %bb.60:
	v_dual_mov_b32 v8, 0 :: v_dual_add_nc_u32 v7, v7, v16
	s_mov_b32 s3, exec_lo
	s_mov_b64 s[0:1], 0
	s_delay_alu instid0(VALU_DEP_1) | instskip(NEXT) | instid1(VALU_DEP_1)
	v_lshlrev_b64 v[6:7], 2, v[7:8]
	v_add_co_u32 v6, vcc_lo, s12, v6
	s_delay_alu instid0(VALU_DEP_2) | instskip(SKIP_3) | instid1(VALU_DEP_1)
	v_add_co_ci_u32_e32 v7, vcc_lo, s13, v7, vcc_lo
	global_load_b32 v16, v[6:7], off
	s_waitcnt vmcnt(0)
	v_ashrrev_i32_e32 v17, 31, v16
	v_lshlrev_b64 v[16:17], 2, v[16:17]
	s_delay_alu instid0(VALU_DEP_1) | instskip(NEXT) | instid1(VALU_DEP_2)
	v_add_co_u32 v16, vcc_lo, s14, v16
	v_add_co_ci_u32_e32 v17, vcc_lo, s15, v17, vcc_lo
	global_load_b32 v3, v[16:17], off
	s_waitcnt vmcnt(0)
	v_and_b32_e32 v9, 0xff, v3
	v_bfe_u32 v16, v3, 8, 8
	v_bfe_u32 v17, v3, 16, 8
	v_lshrrev_b32_e32 v3, 24, v3
	s_delay_alu instid0(VALU_DEP_4) | instskip(NEXT) | instid1(VALU_DEP_4)
	v_add_lshl_u32 v9, v4, v9, 1
	v_add_lshl_u32 v16, v0, v16, 3
	s_delay_alu instid0(VALU_DEP_4) | instskip(NEXT) | instid1(VALU_DEP_4)
	v_add_lshl_u32 v17, v5, v17, 5
	v_sub_nc_u32_e32 v3, 16, v3
	s_delay_alu instid0(VALU_DEP_2) | instskip(SKIP_4) | instid1(VALU_DEP_2)
	v_add3_u32 v9, v17, v16, v9
	ds_load_u16 v9, v9 offset:912
	s_waitcnt lgkmcnt(0)
	v_lshrrev_b32_e32 v3, v3, v9
	v_and_b32_e32 v9, 0x1fff, v9
	v_bcnt_u32_b32 v3, v3, 0
	s_delay_alu instid0(VALU_DEP_1)
	v_add3_u32 v3, v9, v15, v3
.LBB4_61:                               ; =>This Inner Loop Header: Depth=1
	s_ctz_i32_b32 s12, s3
	s_delay_alu instid0(VALU_DEP_1) | instid1(SALU_CYCLE_1)
	v_readlane_b32 s13, v3, s12
	v_readlane_b32 s20, v8, s12
	s_delay_alu instid0(VALU_DEP_2) | instskip(NEXT) | instid1(VALU_DEP_1)
	s_add_u32 s0, s0, s13
	s_addc_u32 s1, s1, s20
	s_lshl_b32 s12, 1, s12
	s_delay_alu instid0(SALU_CYCLE_1) | instskip(NEXT) | instid1(SALU_CYCLE_1)
	s_and_not1_b32 s3, s3, s12
	s_cmp_lg_u32 s3, 0
	s_cbranch_scc1 .LBB4_61
; %bb.62:
	v_mbcnt_lo_u32_b32 v3, exec_lo, 0
	s_mov_b32 s3, exec_lo
	s_delay_alu instid0(VALU_DEP_1)
	v_cmpx_eq_u32_e32 0, v3
	s_xor_b32 s3, exec_lo, s3
	s_cbranch_execz .LBB4_64
; %bb.63:
	v_mov_b32_e32 v9, s1
	v_dual_mov_b32 v3, 0 :: v_dual_mov_b32 v8, s0
	global_atomic_add_u64 v3, v[8:9], s[4:5]
.LBB4_64:
	s_or_b32 exec_lo, exec_lo, s3
	global_load_b32 v8, v[6:7], off offset:4
	s_mov_b32 s3, exec_lo
	s_mov_b64 s[0:1], 0
	s_waitcnt vmcnt(0)
	v_ashrrev_i32_e32 v9, 31, v8
	s_delay_alu instid0(VALU_DEP_1) | instskip(NEXT) | instid1(VALU_DEP_1)
	v_lshlrev_b64 v[8:9], 2, v[8:9]
	v_add_co_u32 v8, vcc_lo, s14, v8
	s_delay_alu instid0(VALU_DEP_2)
	v_add_co_ci_u32_e32 v9, vcc_lo, s15, v9, vcc_lo
	global_load_b32 v3, v[8:9], off
	s_waitcnt vmcnt(0)
	v_and_b32_e32 v8, 0xff, v3
	v_bfe_u32 v9, v3, 8, 8
	v_bfe_u32 v16, v3, 16, 8
	v_lshrrev_b32_e32 v3, 24, v3
	s_delay_alu instid0(VALU_DEP_4) | instskip(NEXT) | instid1(VALU_DEP_4)
	v_add_lshl_u32 v8, v4, v8, 1
	v_add_lshl_u32 v9, v0, v9, 3
	s_delay_alu instid0(VALU_DEP_4) | instskip(NEXT) | instid1(VALU_DEP_4)
	v_add_lshl_u32 v16, v5, v16, 5
	v_sub_nc_u32_e32 v3, 16, v3
	s_delay_alu instid0(VALU_DEP_2) | instskip(SKIP_4) | instid1(VALU_DEP_2)
	v_add3_u32 v8, v16, v9, v8
	ds_load_u16 v8, v8 offset:912
	s_waitcnt lgkmcnt(0)
	v_lshrrev_b32_e32 v3, v3, v8
	v_and_b32_e32 v8, 0x1fff, v8
	v_bcnt_u32_b32 v3, v3, 0
	s_delay_alu instid0(VALU_DEP_1)
	v_add3_u32 v3, v8, v15, v3
	v_mov_b32_e32 v8, 0
.LBB4_65:                               ; =>This Inner Loop Header: Depth=1
	s_ctz_i32_b32 s12, s3
	s_delay_alu instid0(VALU_DEP_2) | instid1(SALU_CYCLE_1)
	v_readlane_b32 s13, v3, s12
	s_delay_alu instid0(VALU_DEP_2) | instskip(NEXT) | instid1(VALU_DEP_2)
	v_readlane_b32 s20, v8, s12
	s_add_u32 s0, s0, s13
	s_delay_alu instid0(VALU_DEP_1) | instskip(SKIP_1) | instid1(SALU_CYCLE_1)
	s_addc_u32 s1, s1, s20
	s_lshl_b32 s12, 1, s12
	s_and_not1_b32 s3, s3, s12
	s_delay_alu instid0(SALU_CYCLE_1)
	s_cmp_lg_u32 s3, 0
	s_cbranch_scc1 .LBB4_65
; %bb.66:
	v_mbcnt_lo_u32_b32 v3, exec_lo, 0
	s_mov_b32 s3, exec_lo
	s_delay_alu instid0(VALU_DEP_1)
	v_cmpx_eq_u32_e32 0, v3
	s_xor_b32 s3, exec_lo, s3
	s_cbranch_execz .LBB4_68
; %bb.67:
	v_mov_b32_e32 v9, s1
	v_dual_mov_b32 v3, 0 :: v_dual_mov_b32 v8, s0
	global_atomic_add_u64 v3, v[8:9], s[4:5]
.LBB4_68:
	s_or_b32 exec_lo, exec_lo, s3
	global_load_b32 v6, v[6:7], off offset:8
	s_mov_b32 s3, exec_lo
	s_mov_b64 s[0:1], 0
	s_waitcnt vmcnt(0)
	v_ashrrev_i32_e32 v7, 31, v6
	s_delay_alu instid0(VALU_DEP_1) | instskip(NEXT) | instid1(VALU_DEP_1)
	v_lshlrev_b64 v[6:7], 2, v[6:7]
	v_add_co_u32 v6, vcc_lo, s14, v6
	s_delay_alu instid0(VALU_DEP_2)
	v_add_co_ci_u32_e32 v7, vcc_lo, s15, v7, vcc_lo
	global_load_b32 v3, v[6:7], off
	s_waitcnt vmcnt(0)
	v_and_b32_e32 v6, 0xff, v3
	v_bfe_u32 v7, v3, 8, 8
	v_bfe_u32 v8, v3, 16, 8
	v_lshrrev_b32_e32 v3, 24, v3
	s_delay_alu instid0(VALU_DEP_4) | instskip(NEXT) | instid1(VALU_DEP_4)
	v_add_lshl_u32 v4, v4, v6, 1
	v_add_lshl_u32 v6, v0, v7, 3
	s_delay_alu instid0(VALU_DEP_4) | instskip(NEXT) | instid1(VALU_DEP_4)
	v_add_lshl_u32 v5, v5, v8, 5
	v_sub_nc_u32_e32 v3, 16, v3
	s_delay_alu instid0(VALU_DEP_2) | instskip(SKIP_4) | instid1(VALU_DEP_2)
	v_add3_u32 v4, v5, v6, v4
	ds_load_u16 v4, v4 offset:912
	s_waitcnt lgkmcnt(0)
	v_lshrrev_b32_e32 v3, v3, v4
	v_and_b32_e32 v4, 0x1fff, v4
	v_bcnt_u32_b32 v3, v3, 0
	s_delay_alu instid0(VALU_DEP_1)
	v_add3_u32 v3, v4, v15, v3
	v_mov_b32_e32 v4, 0
.LBB4_69:                               ; =>This Inner Loop Header: Depth=1
	s_ctz_i32_b32 s12, s3
	s_delay_alu instid0(VALU_DEP_2) | instid1(SALU_CYCLE_1)
	v_readlane_b32 s13, v3, s12
	s_delay_alu instid0(VALU_DEP_2) | instskip(NEXT) | instid1(VALU_DEP_2)
	v_readlane_b32 s14, v4, s12
	s_add_u32 s0, s0, s13
	s_delay_alu instid0(VALU_DEP_1) | instskip(SKIP_1) | instid1(SALU_CYCLE_1)
	s_addc_u32 s1, s1, s14
	s_lshl_b32 s12, 1, s12
	s_and_not1_b32 s3, s3, s12
	s_delay_alu instid0(SALU_CYCLE_1)
	s_cmp_lg_u32 s3, 0
	s_cbranch_scc1 .LBB4_69
; %bb.70:
	v_mbcnt_lo_u32_b32 v3, exec_lo, 0
	s_mov_b32 s3, exec_lo
	s_delay_alu instid0(VALU_DEP_1)
	v_cmpx_eq_u32_e32 0, v3
	s_xor_b32 s3, exec_lo, s3
	s_cbranch_execz .LBB4_72
; %bb.71:
	v_dual_mov_b32 v5, 0 :: v_dual_mov_b32 v4, s1
	v_mov_b32_e32 v3, s0
	global_atomic_add_u64 v5, v[3:4], s[4:5]
.LBB4_72:
	s_or_b32 exec_lo, exec_lo, s2
	s_mul_hi_u32 s0, s18, 0xc0c0c1
	v_dual_sub_f32 v8, s19, v11 :: v_dual_mov_b32 v5, 0
	s_mulk_i32 s0, 0x154
	v_mov_b32_e32 v6, 0
	s_sub_i32 s0, s18, s0
	s_delay_alu instid0(SALU_CYCLE_1) | instskip(SKIP_3) | instid1(VALU_DEP_3)
	v_mad_u64_u32 v[3:4], null, s0, 3, v[0:1]
	v_mov_b32_e32 v0, 0
	v_mov_b32_e32 v4, 0
	s_mov_b32 s0, exec_lo
	v_add_nc_u32_e32 v7, 0xfffffe00, v3
	v_cmpx_lt_u32_e32 0x7fff, v14
	s_cbranch_execz .LBB4_74
; %bb.73:
	ds_load_b32 v4, v12 offset:4
	v_cvt_f32_u32_e32 v5, v2
	s_waitcnt lgkmcnt(0)
	v_subrev_f32_e32 v6, s19, v4
	v_add_nc_u32_e32 v2, 1, v2
	s_delay_alu instid0(VALU_DEP_2) | instskip(NEXT) | instid1(VALU_DEP_2)
	v_dual_sub_f32 v4, v4, v11 :: v_dual_mul_f32 v5, v6, v5
	v_cvt_f32_u32_e32 v2, v2
	s_delay_alu instid0(VALU_DEP_1) | instskip(NEXT) | instid1(VALU_DEP_1)
	v_fmac_f32_e32 v5, v8, v2
	v_div_scale_f32 v2, null, v4, v4, v5
	v_div_scale_f32 v15, vcc_lo, v5, v4, v5
	s_delay_alu instid0(VALU_DEP_2) | instskip(SKIP_2) | instid1(VALU_DEP_1)
	v_rcp_f32_e32 v6, v2
	s_waitcnt_depctr 0xfff
	v_fma_f32 v9, -v2, v6, 1.0
	v_fmac_f32_e32 v6, v9, v6
	s_delay_alu instid0(VALU_DEP_1) | instskip(NEXT) | instid1(VALU_DEP_1)
	v_mul_f32_e32 v9, v15, v6
	v_fma_f32 v16, -v2, v9, v15
	s_delay_alu instid0(VALU_DEP_1) | instskip(NEXT) | instid1(VALU_DEP_1)
	v_fmac_f32_e32 v9, v16, v6
	v_fma_f32 v2, -v2, v9, v15
	s_delay_alu instid0(VALU_DEP_1) | instskip(NEXT) | instid1(VALU_DEP_1)
	v_div_fmas_f32 v2, v2, v6, v9
	v_div_fixup_f32 v2, v2, v4, v5
	v_cvt_f32_i32_e32 v4, v7
	s_delay_alu instid0(VALU_DEP_2) | instskip(NEXT) | instid1(VALU_DEP_2)
	v_dual_mov_b32 v5, v13 :: v_dual_add_f32 v2, 0xc4000000, v2
	v_mul_f32_e32 v6, 0x3b000000, v4
	s_delay_alu instid0(VALU_DEP_2)
	v_mul_f32_e32 v4, 0x3b000000, v2
.LBB4_74:
	s_or_b32 exec_lo, exec_lo, s0
	v_and_b32_e32 v2, 0x4000, v14
	s_mov_b32 s0, exec_lo
	s_delay_alu instid0(VALU_DEP_1)
	v_cmpx_ne_u32_e32 0, v2
	s_cbranch_execz .LBB4_76
; %bb.75:
	ds_load_b32 v0, v12 offset:20
	v_cvt_f32_u32_e32 v2, v3
	v_add_f32_e32 v5, v13, v5
	s_waitcnt lgkmcnt(0)
	v_dual_subrev_f32 v9, s19, v0 :: v_dual_sub_f32 v0, v0, v11
	s_delay_alu instid0(VALU_DEP_1) | instskip(NEXT) | instid1(VALU_DEP_1)
	v_dual_mul_f32 v2, v9, v2 :: v_dual_add_nc_u32 v3, 1, v3
	v_cvt_f32_u32_e32 v3, v3
	s_delay_alu instid0(VALU_DEP_1) | instskip(NEXT) | instid1(VALU_DEP_1)
	v_fmac_f32_e32 v2, v8, v3
	v_div_scale_f32 v3, null, v0, v0, v2
	s_delay_alu instid0(VALU_DEP_1) | instskip(SKIP_2) | instid1(VALU_DEP_1)
	v_rcp_f32_e32 v9, v3
	s_waitcnt_depctr 0xfff
	v_fma_f32 v15, -v3, v9, 1.0
	v_fmac_f32_e32 v9, v15, v9
	v_div_scale_f32 v16, vcc_lo, v2, v0, v2
	s_delay_alu instid0(VALU_DEP_1) | instskip(NEXT) | instid1(VALU_DEP_1)
	v_mul_f32_e32 v15, v16, v9
	v_fma_f32 v17, -v3, v15, v16
	s_delay_alu instid0(VALU_DEP_1) | instskip(NEXT) | instid1(VALU_DEP_1)
	v_fmac_f32_e32 v15, v17, v9
	v_fma_f32 v3, -v3, v15, v16
	s_delay_alu instid0(VALU_DEP_1) | instskip(NEXT) | instid1(VALU_DEP_1)
	v_div_fmas_f32 v3, v3, v9, v15
	v_div_fixup_f32 v0, v3, v0, v2
	s_delay_alu instid0(VALU_DEP_1) | instskip(NEXT) | instid1(VALU_DEP_1)
	v_add_f32_e32 v0, 0xc4000000, v0
	v_fmamk_f32 v4, v0, 0x3b000000, v4
	v_mov_b32_e32 v0, v10
.LBB4_76:
	s_or_b32 exec_lo, exec_lo, s0
	v_and_b32_e32 v2, 0x2000, v14
	s_mov_b32 s0, exec_lo
	s_delay_alu instid0(VALU_DEP_1)
	v_cmpx_ne_u32_e32 0, v2
	s_cbranch_execz .LBB4_78
; %bb.77:
	ds_load_b32 v2, v12 offset:100
	v_cvt_f32_u32_e32 v3, v1
	v_dual_add_f32 v0, v10, v0 :: v_dual_add_nc_u32 v1, 1, v1
	s_waitcnt lgkmcnt(0)
	v_dual_subrev_f32 v9, s19, v2 :: v_dual_sub_f32 v2, v2, v11
	s_delay_alu instid0(VALU_DEP_2) | instskip(NEXT) | instid1(VALU_DEP_2)
	v_cvt_f32_u32_e32 v1, v1
	v_mul_f32_e32 v3, v9, v3
	s_delay_alu instid0(VALU_DEP_1) | instskip(NEXT) | instid1(VALU_DEP_1)
	v_fmac_f32_e32 v3, v8, v1
	v_div_scale_f32 v1, null, v2, v2, v3
	s_delay_alu instid0(VALU_DEP_1) | instskip(SKIP_2) | instid1(VALU_DEP_1)
	v_rcp_f32_e32 v8, v1
	s_waitcnt_depctr 0xfff
	v_fma_f32 v9, -v1, v8, 1.0
	v_fmac_f32_e32 v8, v9, v8
	v_div_scale_f32 v9, vcc_lo, v3, v2, v3
	s_delay_alu instid0(VALU_DEP_1) | instskip(NEXT) | instid1(VALU_DEP_1)
	v_mul_f32_e32 v11, v9, v8
	v_fma_f32 v12, -v1, v11, v9
	s_delay_alu instid0(VALU_DEP_1) | instskip(NEXT) | instid1(VALU_DEP_1)
	v_fmac_f32_e32 v11, v12, v8
	v_fma_f32 v1, -v1, v11, v9
	s_delay_alu instid0(VALU_DEP_1) | instskip(NEXT) | instid1(VALU_DEP_1)
	v_div_fmas_f32 v1, v1, v8, v11
	v_div_fixup_f32 v1, v1, v2, v3
	v_cvt_f32_i32_e32 v2, v7
	s_delay_alu instid0(VALU_DEP_2) | instskip(NEXT) | instid1(VALU_DEP_2)
	v_add_f32_e32 v1, 0xc4000000, v1
	v_fmac_f32_e32 v6, 0x3b000000, v2
	s_delay_alu instid0(VALU_DEP_2)
	v_fmac_f32_e32 v4, 0x3b000000, v1
.LBB4_78:
	s_or_b32 exec_lo, exec_lo, s0
	v_bfrev_b32_e32 v2, 1
	s_mov_b32 s0, exec_lo
.LBB4_79:                               ; =>This Inner Loop Header: Depth=1
	s_delay_alu instid0(SALU_CYCLE_1) | instskip(NEXT) | instid1(SALU_CYCLE_1)
	s_ctz_i32_b32 s1, s0
	v_readlane_b32 s2, v0, s1
	s_lshl_b32 s1, 1, s1
	s_delay_alu instid0(SALU_CYCLE_1) | instskip(NEXT) | instid1(SALU_CYCLE_1)
	s_and_not1_b32 s0, s0, s1
	s_cmp_lg_u32 s0, 0
	s_delay_alu instid0(VALU_DEP_1)
	v_add_f32_e32 v2, s2, v2
	s_cbranch_scc1 .LBB4_79
; %bb.80:
	v_mbcnt_lo_u32_b32 v0, exec_lo, 0
	s_mov_b32 s1, 0
	s_mov_b32 s0, exec_lo
	s_delay_alu instid0(VALU_DEP_1)
	v_cmpx_eq_u32_e32 0, v0
	s_xor_b32 s0, exec_lo, s0
	s_cbranch_execz .LBB4_84
; %bb.81:
	s_load_b32 s2, s[6:7], 0x0
	v_mov_b32_e32 v3, 0
	s_waitcnt lgkmcnt(0)
	v_mov_b32_e32 v1, s2
.LBB4_82:                               ; =>This Inner Loop Header: Depth=1
	s_delay_alu instid0(VALU_DEP_1)
	v_add_f32_e32 v0, v1, v2
	global_atomic_cmpswap_b32 v0, v3, v[0:1], s[6:7] glc
	s_waitcnt vmcnt(0)
	v_cmp_eq_u32_e32 vcc_lo, v0, v1
	v_mov_b32_e32 v1, v0
	s_or_b32 s1, vcc_lo, s1
	s_delay_alu instid0(SALU_CYCLE_1)
	s_and_not1_b32 exec_lo, exec_lo, s1
	s_cbranch_execnz .LBB4_82
; %bb.83:
	s_or_b32 exec_lo, exec_lo, s1
.LBB4_84:
	s_delay_alu instid0(SALU_CYCLE_1)
	s_or_b32 exec_lo, exec_lo, s0
	v_bfrev_b32_e32 v2, 1
	s_mov_b32 s0, exec_lo
.LBB4_85:                               ; =>This Inner Loop Header: Depth=1
	s_delay_alu instid0(SALU_CYCLE_1) | instskip(NEXT) | instid1(SALU_CYCLE_1)
	s_ctz_i32_b32 s1, s0
	v_readlane_b32 s2, v6, s1
	s_lshl_b32 s1, 1, s1
	s_delay_alu instid0(SALU_CYCLE_1) | instskip(NEXT) | instid1(SALU_CYCLE_1)
	s_and_not1_b32 s0, s0, s1
	s_cmp_lg_u32 s0, 0
	s_delay_alu instid0(VALU_DEP_1)
	v_add_f32_e32 v2, s2, v2
	s_cbranch_scc1 .LBB4_85
; %bb.86:
	v_mbcnt_lo_u32_b32 v0, exec_lo, 0
	s_mov_b32 s1, 0
	s_mov_b32 s0, exec_lo
	s_delay_alu instid0(VALU_DEP_1)
	v_cmpx_eq_u32_e32 0, v0
	s_xor_b32 s0, exec_lo, s0
	s_cbranch_execz .LBB4_90
; %bb.87:
	s_load_b32 s2, s[8:9], 0x0
	v_mov_b32_e32 v3, 0
	s_waitcnt lgkmcnt(0)
	v_mov_b32_e32 v1, s2
.LBB4_88:                               ; =>This Inner Loop Header: Depth=1
	s_delay_alu instid0(VALU_DEP_1)
	v_add_f32_e32 v0, v1, v2
	global_atomic_cmpswap_b32 v0, v3, v[0:1], s[8:9] glc
	s_waitcnt vmcnt(0)
	v_cmp_eq_u32_e32 vcc_lo, v0, v1
	v_mov_b32_e32 v1, v0
	s_or_b32 s1, vcc_lo, s1
	s_delay_alu instid0(SALU_CYCLE_1)
	s_and_not1_b32 exec_lo, exec_lo, s1
	s_cbranch_execnz .LBB4_88
; %bb.89:
	s_or_b32 exec_lo, exec_lo, s1
.LBB4_90:
	s_delay_alu instid0(SALU_CYCLE_1)
	;; [unrolled: 42-line block ×3, first 2 shown]
	s_or_b32 exec_lo, exec_lo, s0
	v_bfrev_b32_e32 v2, 1
	s_mov_b32 s0, exec_lo
.LBB4_97:                               ; =>This Inner Loop Header: Depth=1
	s_delay_alu instid0(SALU_CYCLE_1) | instskip(NEXT) | instid1(SALU_CYCLE_1)
	s_ctz_i32_b32 s1, s0
	v_readlane_b32 s2, v4, s1
	s_lshl_b32 s1, 1, s1
	s_delay_alu instid0(SALU_CYCLE_1) | instskip(NEXT) | instid1(SALU_CYCLE_1)
	s_and_not1_b32 s0, s0, s1
	s_cmp_lg_u32 s0, 0
	s_delay_alu instid0(VALU_DEP_1)
	v_add_f32_e32 v2, s2, v2
	s_cbranch_scc1 .LBB4_97
; %bb.98:
	v_mbcnt_lo_u32_b32 v0, exec_lo, 0
	s_mov_b32 s0, 0
	s_mov_b32 s1, exec_lo
	s_delay_alu instid0(VALU_DEP_1)
	v_cmpx_eq_u32_e32 0, v0
	s_xor_b32 s1, exec_lo, s1
	s_cbranch_execz .LBB4_101
; %bb.99:
	s_load_b32 s1, s[16:17], 0x0
	v_mov_b32_e32 v3, 0
	s_waitcnt lgkmcnt(0)
	v_mov_b32_e32 v1, s1
.LBB4_100:                              ; =>This Inner Loop Header: Depth=1
	s_delay_alu instid0(VALU_DEP_1)
	v_add_f32_e32 v0, v1, v2
	global_atomic_cmpswap_b32 v0, v3, v[0:1], s[16:17] glc
	s_waitcnt vmcnt(0)
	v_cmp_eq_u32_e32 vcc_lo, v0, v1
	v_mov_b32_e32 v1, v0
	s_or_b32 s0, vcc_lo, s0
	s_delay_alu instid0(SALU_CYCLE_1)
	s_and_not1_b32 exec_lo, exec_lo, s0
	s_cbranch_execnz .LBB4_100
.LBB4_101:
	s_nop 0
	s_sendmsg sendmsg(MSG_DEALLOC_VGPRS)
	s_endpgm
	.section	.rodata,"a",@progbits
	.p2align	6, 0x0
	.amdhsa_kernel _Z19generatingTrianglesfPKjPKtPKiPK15HIP_vector_typeIhLj4EEPjS9_PyPfSB_SB_SB_
		.amdhsa_group_segment_fixed_size 1424
		.amdhsa_private_segment_fixed_size 0
		.amdhsa_kernarg_size 96
		.amdhsa_user_sgpr_count 15
		.amdhsa_user_sgpr_dispatch_ptr 0
		.amdhsa_user_sgpr_queue_ptr 0
		.amdhsa_user_sgpr_kernarg_segment_ptr 1
		.amdhsa_user_sgpr_dispatch_id 0
		.amdhsa_user_sgpr_private_segment_size 0
		.amdhsa_wavefront_size32 1
		.amdhsa_uses_dynamic_stack 0
		.amdhsa_enable_private_segment 0
		.amdhsa_system_sgpr_workgroup_id_x 1
		.amdhsa_system_sgpr_workgroup_id_y 0
		.amdhsa_system_sgpr_workgroup_id_z 0
		.amdhsa_system_sgpr_workgroup_info 0
		.amdhsa_system_vgpr_workitem_id 2
		.amdhsa_next_free_vgpr 23
		.amdhsa_next_free_sgpr 34
		.amdhsa_reserve_vcc 1
		.amdhsa_float_round_mode_32 0
		.amdhsa_float_round_mode_16_64 0
		.amdhsa_float_denorm_mode_32 3
		.amdhsa_float_denorm_mode_16_64 3
		.amdhsa_dx10_clamp 1
		.amdhsa_ieee_mode 1
		.amdhsa_fp16_overflow 0
		.amdhsa_workgroup_processor_mode 1
		.amdhsa_memory_ordered 1
		.amdhsa_forward_progress 0
		.amdhsa_shared_vgpr_count 0
		.amdhsa_exception_fp_ieee_invalid_op 0
		.amdhsa_exception_fp_denorm_src 0
		.amdhsa_exception_fp_ieee_div_zero 0
		.amdhsa_exception_fp_ieee_overflow 0
		.amdhsa_exception_fp_ieee_underflow 0
		.amdhsa_exception_fp_ieee_inexact 0
		.amdhsa_exception_int_div_zero 0
	.end_amdhsa_kernel
	.text
.Lfunc_end4:
	.size	_Z19generatingTrianglesfPKjPKtPKiPK15HIP_vector_typeIhLj4EEPjS9_PyPfSB_SB_SB_, .Lfunc_end4-_Z19generatingTrianglesfPKjPKtPKiPK15HIP_vector_typeIhLj4EEPjS9_PyPfSB_SB_SB_
                                        ; -- End function
	.section	.AMDGPU.csdata,"",@progbits
; Kernel info:
; codeLenInByte = 6384
; NumSgprs: 36
; NumVgprs: 23
; ScratchSize: 0
; MemoryBound: 0
; FloatMode: 240
; IeeeMode: 1
; LDSByteSize: 1424 bytes/workgroup (compile time only)
; SGPRBlocks: 4
; VGPRBlocks: 2
; NumSGPRsForWavesPerEU: 36
; NumVGPRsForWavesPerEU: 23
; Occupancy: 16
; WaveLimiterHint : 1
; COMPUTE_PGM_RSRC2:SCRATCH_EN: 0
; COMPUTE_PGM_RSRC2:USER_SGPR: 15
; COMPUTE_PGM_RSRC2:TRAP_HANDLER: 0
; COMPUTE_PGM_RSRC2:TGID_X_EN: 1
; COMPUTE_PGM_RSRC2:TGID_Y_EN: 0
; COMPUTE_PGM_RSRC2:TGID_Z_EN: 0
; COMPUTE_PGM_RSRC2:TIDIG_COMP_CNT: 2
	.text
	.p2alignl 7, 3214868480
	.fill 96, 4, 3214868480
	.type	__hip_cuid_762c1d04e699a6bd,@object ; @__hip_cuid_762c1d04e699a6bd
	.section	.bss,"aw",@nobits
	.globl	__hip_cuid_762c1d04e699a6bd
__hip_cuid_762c1d04e699a6bd:
	.byte	0                               ; 0x0
	.size	__hip_cuid_762c1d04e699a6bd, 1

	.ident	"AMD clang version 19.0.0git (https://github.com/RadeonOpenCompute/llvm-project roc-6.4.0 25133 c7fe45cf4b819c5991fe208aaa96edf142730f1d)"
	.section	".note.GNU-stack","",@progbits
	.addrsig
	.addrsig_sym __hip_cuid_762c1d04e699a6bd
	.amdgpu_metadata
---
amdhsa.kernels:
  - .args:
      - .actual_access:  write_only
        .address_space:  global
        .offset:         0
        .size:           8
        .value_kind:     global_buffer
    .group_segment_fixed_size: 256
    .kernarg_segment_align: 8
    .kernarg_segment_size: 8
    .language:       OpenCL C
    .language_version:
      - 2
      - 0
    .max_flat_workgroup_size: 1024
    .name:           _Z16computeMinMaxLv1Pf
    .private_segment_fixed_size: 0
    .sgpr_count:     18
    .sgpr_spill_count: 0
    .symbol:         _Z16computeMinMaxLv1Pf.kd
    .uniform_work_group_size: 1
    .uses_dynamic_stack: false
    .vgpr_count:     33
    .vgpr_spill_count: 0
    .wavefront_size: 32
    .workgroup_processor_mode: 1
  - .args:
      - .offset:         0
        .size:           4
        .value_kind:     by_value
      - .actual_access:  read_only
        .address_space:  global
        .offset:         8
        .size:           8
        .value_kind:     global_buffer
      - .actual_access:  write_only
        .address_space:  global
        .offset:         16
        .size:           8
        .value_kind:     global_buffer
      - .address_space:  global
        .offset:         24
        .size:           8
        .value_kind:     global_buffer
    .group_segment_fixed_size: 128
    .kernarg_segment_align: 8
    .kernarg_segment_size: 32
    .language:       OpenCL C
    .language_version:
      - 2
      - 0
    .max_flat_workgroup_size: 1024
    .name:           _Z10compactLv1fPKfPjS1_
    .private_segment_fixed_size: 0
    .sgpr_count:     18
    .sgpr_spill_count: 0
    .symbol:         _Z10compactLv1fPKfPjS1_.kd
    .uniform_work_group_size: 1
    .uses_dynamic_stack: false
    .vgpr_count:     9
    .vgpr_spill_count: 0
    .wavefront_size: 32
    .workgroup_processor_mode: 1
  - .args:
      - .actual_access:  read_only
        .address_space:  global
        .offset:         0
        .size:           8
        .value_kind:     global_buffer
      - .actual_access:  write_only
        .address_space:  global
        .offset:         8
        .size:           8
        .value_kind:     global_buffer
    .group_segment_fixed_size: 0
    .kernarg_segment_align: 8
    .kernarg_segment_size: 16
    .language:       OpenCL C
    .language_version:
      - 2
      - 0
    .max_flat_workgroup_size: 1024
    .name:           _Z16computeMinMaxLv2PKjPf
    .private_segment_fixed_size: 0
    .sgpr_count:     18
    .sgpr_spill_count: 0
    .symbol:         _Z16computeMinMaxLv2PKjPf.kd
    .uniform_work_group_size: 1
    .uses_dynamic_stack: false
    .vgpr_count:     18
    .vgpr_spill_count: 0
    .wavefront_size: 32
    .workgroup_processor_mode: 1
  - .args:
      - .offset:         0
        .size:           4
        .value_kind:     by_value
      - .actual_access:  read_only
        .address_space:  global
        .offset:         8
        .size:           8
        .value_kind:     global_buffer
      - .actual_access:  read_only
        .address_space:  global
        .offset:         16
        .size:           8
        .value_kind:     global_buffer
      - .actual_access:  write_only
        .address_space:  global
        .offset:         24
        .size:           8
        .value_kind:     global_buffer
      - .offset:         32
        .size:           4
        .value_kind:     by_value
      - .address_space:  global
        .offset:         40
        .size:           8
        .value_kind:     global_buffer
    .group_segment_fixed_size: 128
    .kernarg_segment_align: 8
    .kernarg_segment_size: 48
    .language:       OpenCL C
    .language_version:
      - 2
      - 0
    .max_flat_workgroup_size: 1024
    .name:           _Z10compactLv2fPKfPKjPjjS3_
    .private_segment_fixed_size: 0
    .sgpr_count:     18
    .sgpr_spill_count: 0
    .symbol:         _Z10compactLv2fPKfPKjPjjS3_.kd
    .uniform_work_group_size: 1
    .uses_dynamic_stack: false
    .vgpr_count:     12
    .vgpr_spill_count: 0
    .wavefront_size: 32
    .workgroup_processor_mode: 1
  - .args:
      - .offset:         0
        .size:           4
        .value_kind:     by_value
      - .actual_access:  read_only
        .address_space:  global
        .offset:         8
        .size:           8
        .value_kind:     global_buffer
      - .actual_access:  read_only
        .address_space:  global
        .offset:         16
        .size:           8
        .value_kind:     global_buffer
      - .actual_access:  read_only
        .address_space:  global
        .offset:         24
        .size:           8
        .value_kind:     global_buffer
      - .actual_access:  read_only
        .address_space:  global
        .offset:         32
        .size:           8
        .value_kind:     global_buffer
      - .address_space:  global
        .offset:         40
        .size:           8
        .value_kind:     global_buffer
      - .address_space:  global
        .offset:         48
        .size:           8
        .value_kind:     global_buffer
      - .address_space:  global
        .offset:         56
        .size:           8
        .value_kind:     global_buffer
      - .address_space:  global
        .offset:         64
        .size:           8
        .value_kind:     global_buffer
      - .address_space:  global
        .offset:         72
        .size:           8
        .value_kind:     global_buffer
      - .address_space:  global
        .offset:         80
        .size:           8
        .value_kind:     global_buffer
      - .address_space:  global
        .offset:         88
        .size:           8
        .value_kind:     global_buffer
    .group_segment_fixed_size: 1424
    .kernarg_segment_align: 8
    .kernarg_segment_size: 96
    .language:       OpenCL C
    .language_version:
      - 2
      - 0
    .max_flat_workgroup_size: 1024
    .name:           _Z19generatingTrianglesfPKjPKtPKiPK15HIP_vector_typeIhLj4EEPjS9_PyPfSB_SB_SB_
    .private_segment_fixed_size: 0
    .sgpr_count:     36
    .sgpr_spill_count: 0
    .symbol:         _Z19generatingTrianglesfPKjPKtPKiPK15HIP_vector_typeIhLj4EEPjS9_PyPfSB_SB_SB_.kd
    .uniform_work_group_size: 1
    .uses_dynamic_stack: false
    .vgpr_count:     23
    .vgpr_spill_count: 0
    .wavefront_size: 32
    .workgroup_processor_mode: 1
amdhsa.target:   amdgcn-amd-amdhsa--gfx1100
amdhsa.version:
  - 1
  - 2
...

	.end_amdgpu_metadata
